;; amdgpu-corpus repo=ROCm/rocFFT kind=compiled arch=gfx1100 opt=O3
	.text
	.amdgcn_target "amdgcn-amd-amdhsa--gfx1100"
	.amdhsa_code_object_version 6
	.protected	bluestein_single_fwd_len1925_dim1_dp_op_CI_CI ; -- Begin function bluestein_single_fwd_len1925_dim1_dp_op_CI_CI
	.globl	bluestein_single_fwd_len1925_dim1_dp_op_CI_CI
	.p2align	8
	.type	bluestein_single_fwd_len1925_dim1_dp_op_CI_CI,@function
bluestein_single_fwd_len1925_dim1_dp_op_CI_CI: ; @bluestein_single_fwd_len1925_dim1_dp_op_CI_CI
; %bb.0:
	s_load_b128 s[16:19], s[0:1], 0x28
	v_mul_u32_u24_e32 v1, 0x4a8, v0
	s_mov_b32 s2, exec_lo
	v_mov_b32_e32 v7, 0
	s_delay_alu instid0(VALU_DEP_2) | instskip(NEXT) | instid1(VALU_DEP_1)
	v_lshrrev_b32_e32 v1, 16, v1
	v_add_nc_u32_e32 v6, s15, v1
	s_waitcnt lgkmcnt(0)
	s_delay_alu instid0(VALU_DEP_1)
	v_cmpx_gt_u64_e64 s[16:17], v[6:7]
	s_cbranch_execz .LBB0_10
; %bb.1:
	s_clause 0x1
	s_load_b128 s[4:7], s[0:1], 0x18
	s_load_b128 s[8:11], s[0:1], 0x0
	v_mul_lo_u16 v1, v1, 55
	s_mov_b32 s28, 0xe976ee23
	s_mov_b32 s16, 0x429ad128
	;; [unrolled: 1-line block ×4, first 2 shown]
	v_sub_nc_u16 v50, v0, v1
	s_mov_b32 s24, 0xaaaaaaaa
	s_mov_b32 s26, 0x5476071b
	v_mov_b32_e32 v4, v6
	s_mov_b32 s25, 0xbff2aaaa
	v_and_b32_e32 v185, 0xffff, v50
	s_mov_b32 s27, 0x3fe77f67
	s_mov_b32 s21, 0xbfe77f67
	scratch_store_b64 off, v[4:5], off offset:212 ; 8-byte Folded Spill
	s_mov_b32 s23, 0xbfd5d0dc
	s_mov_b32 s20, s26
	v_add_co_u32 v196, null, 0xa5, v185
	s_waitcnt lgkmcnt(0)
	s_load_b128 s[12:15], s[4:5], 0x0
	v_lshlrev_b32_e32 v226, 4, v185
	s_delay_alu instid0(VALU_DEP_1) | instskip(NEXT) | instid1(VALU_DEP_1)
	v_add_co_u32 v51, s2, s8, v226
	v_add_co_ci_u32_e64 v52, null, s9, 0, s2
	s_waitcnt lgkmcnt(0)
	v_mad_u64_u32 v[0:1], null, s14, v6, 0
	v_mad_u64_u32 v[2:3], null, s12, v185, 0
	s_mul_i32 s2, s13, 0x1130
	s_mul_hi_u32 s4, s12, 0x1130
	s_mul_i32 s3, s12, 0x1130
	s_mul_i32 s5, s12, 0xffff9c50
	s_add_i32 s2, s4, s2
	s_mul_hi_u32 s4, s12, 0xffff9c50
	s_delay_alu instid0(VALU_DEP_1) | instskip(SKIP_4) | instid1(VALU_DEP_1)
	v_mad_u64_u32 v[4:5], null, s15, v6, v[1:2]
	s_mov_b32 s14, 0xb247c609
	s_mov_b32 s15, 0x3fd5d0dc
	;; [unrolled: 1-line block ×3, first 2 shown]
	s_sub_i32 s4, s4, s12
	v_mad_u64_u32 v[5:6], null, s13, v185, v[3:4]
	v_mov_b32_e32 v1, v4
	s_mulk_i32 s13, 0x9c50
	s_delay_alu instid0(SALU_CYCLE_1) | instskip(SKIP_1) | instid1(VALU_DEP_1)
	s_add_i32 s4, s4, s13
	s_mov_b32 s12, 0x37c3f68c
	v_lshlrev_b64 v[0:1], 4, v[0:1]
	s_delay_alu instid0(VALU_DEP_3) | instskip(SKIP_1) | instid1(VALU_DEP_1)
	v_mov_b32_e32 v3, v5
	s_mov_b32 s13, 0x3fdc38aa
	v_lshlrev_b64 v[2:3], 4, v[2:3]
	s_delay_alu instid0(VALU_DEP_3) | instskip(NEXT) | instid1(VALU_DEP_4)
	v_add_co_u32 v0, vcc_lo, s18, v0
	v_add_co_ci_u32_e32 v1, vcc_lo, s19, v1, vcc_lo
	s_mov_b32 s18, 0x37e14327
	s_delay_alu instid0(VALU_DEP_2) | instskip(NEXT) | instid1(VALU_DEP_2)
	v_add_co_u32 v4, vcc_lo, v0, v2
	v_add_co_ci_u32_e32 v5, vcc_lo, v1, v3, vcc_lo
	global_load_b128 v[67:70], v226, s[8:9]
	global_load_b128 v[0:3], v[4:5], off
	v_add_co_u32 v36, vcc_lo, 0x1000, v51
	v_add_co_ci_u32_e32 v37, vcc_lo, 0, v52, vcc_lo
	v_add_co_u32 v8, vcc_lo, v4, s3
	v_add_co_ci_u32_e32 v9, vcc_lo, s2, v5, vcc_lo
	global_load_b128 v[71:74], v[36:37], off offset:304
	global_load_b128 v[4:7], v[8:9], off
	v_add_co_u32 v46, vcc_lo, 0x2000, v51
	v_add_co_ci_u32_e32 v47, vcc_lo, 0, v52, vcc_lo
	v_add_co_u32 v12, vcc_lo, v8, s3
	v_add_co_ci_u32_e32 v13, vcc_lo, s2, v9, vcc_lo
	global_load_b128 v[75:78], v[46:47], off offset:608
	;; [unrolled: 6-line block ×6, first 2 shown]
	global_load_b128 v[24:27], v[28:29], off
	v_add_co_u32 v32, vcc_lo, v28, s5
	v_add_co_ci_u32_e32 v33, vcc_lo, s4, v29, vcc_lo
	global_load_b128 v[91:94], v226, s[8:9] offset:880
	global_load_b128 v[28:31], v[32:33], off
	v_add_co_u32 v48, vcc_lo, v32, s3
	v_add_co_ci_u32_e32 v49, vcc_lo, s2, v33, vcc_lo
	global_load_b128 v[87:90], v[36:37], off offset:1184
	global_load_b128 v[32:35], v[48:49], off
	v_add_co_u32 v48, vcc_lo, v48, s3
	v_add_co_ci_u32_e32 v49, vcc_lo, s2, v49, vcc_lo
	global_load_b128 v[99:102], v[46:47], off offset:1488
	global_load_b128 v[53:56], v[48:49], off
	v_add_co_u32 v48, vcc_lo, v48, s3
	v_add_co_ci_u32_e32 v49, vcc_lo, s2, v49, vcc_lo
	s_mov_b32 s19, 0x3fe948f6
	s_waitcnt vmcnt(19)
	scratch_store_b128 off, v[67:70], off offset:236 ; 16-byte Folded Spill
	s_waitcnt vmcnt(18)
	v_mul_f64 v[57:58], v[2:3], v[69:70]
	v_mul_f64 v[59:60], v[0:1], v[69:70]
	s_waitcnt vmcnt(17)
	scratch_store_b128 off, v[71:74], off offset:252 ; 16-byte Folded Spill
	s_waitcnt vmcnt(16)
	v_mul_f64 v[61:62], v[6:7], v[73:74]
	s_waitcnt vmcnt(15)
	scratch_store_b128 off, v[75:78], off offset:268 ; 16-byte Folded Spill
	s_waitcnt vmcnt(13)
	scratch_store_b128 off, v[79:82], off offset:284 ; 16-byte Folded Spill
	v_fma_f64 v[0:1], v[0:1], v[67:68], v[57:58]
	v_mul_f64 v[57:58], v[4:5], v[73:74]
	v_fma_f64 v[2:3], v[2:3], v[67:68], -v[59:60]
	v_mul_f64 v[59:60], v[10:11], v[77:78]
	s_waitcnt vmcnt(11)
	scratch_store_b128 off, v[83:86], off offset:300 ; 16-byte Folded Spill
	v_fma_f64 v[4:5], v[4:5], v[71:72], v[61:62]
	v_mul_f64 v[61:62], v[14:15], v[81:82]
	s_waitcnt vmcnt(9)
	scratch_store_b128 off, v[63:66], off offset:220 ; 16-byte Folded Spill
	s_waitcnt vmcnt(7)
	scratch_store_b128 off, v[95:98], off offset:348 ; 16-byte Folded Spill
	;; [unrolled: 2-line block ×3, first 2 shown]
	v_fma_f64 v[6:7], v[6:7], v[71:72], -v[57:58]
	v_mul_f64 v[57:58], v[8:9], v[77:78]
	s_waitcnt vmcnt(3)
	scratch_store_b128 off, v[87:90], off offset:316 ; 16-byte Folded Spill
	v_fma_f64 v[8:9], v[8:9], v[75:76], v[59:60]
	v_mul_f64 v[59:60], v[18:19], v[85:86]
	s_waitcnt vmcnt(1)
	scratch_store_b128 off, v[99:102], off offset:540 ; 16-byte Folded Spill
	v_fma_f64 v[10:11], v[10:11], v[75:76], -v[57:58]
	v_mul_f64 v[57:58], v[12:13], v[81:82]
	v_fma_f64 v[12:13], v[12:13], v[79:80], v[61:62]
	v_mul_f64 v[61:62], v[22:23], v[65:66]
	s_delay_alu instid0(VALU_DEP_3) | instskip(SKIP_3) | instid1(VALU_DEP_3)
	v_fma_f64 v[14:15], v[14:15], v[79:80], -v[57:58]
	v_mul_f64 v[57:58], v[16:17], v[85:86]
	v_fma_f64 v[16:17], v[16:17], v[83:84], v[59:60]
	v_mul_f64 v[59:60], v[26:27], v[97:98]
	v_fma_f64 v[18:19], v[18:19], v[83:84], -v[57:58]
	v_mul_f64 v[57:58], v[20:21], v[65:66]
	v_fma_f64 v[20:21], v[20:21], v[63:64], v[61:62]
	v_mul_f64 v[61:62], v[30:31], v[93:94]
	s_delay_alu instid0(VALU_DEP_3) | instskip(SKIP_3) | instid1(VALU_DEP_3)
	v_fma_f64 v[22:23], v[22:23], v[63:64], -v[57:58]
	v_mul_f64 v[57:58], v[24:25], v[97:98]
	v_fma_f64 v[24:25], v[24:25], v[95:96], v[59:60]
	v_mul_f64 v[59:60], v[34:35], v[89:90]
	v_fma_f64 v[26:27], v[26:27], v[95:96], -v[57:58]
	v_mul_f64 v[57:58], v[28:29], v[93:94]
	v_fma_f64 v[28:29], v[28:29], v[91:92], v[61:62]
	s_waitcnt vmcnt(0)
	v_mul_f64 v[61:62], v[55:56], v[101:102]
	s_delay_alu instid0(VALU_DEP_3) | instskip(SKIP_2) | instid1(VALU_DEP_2)
	v_fma_f64 v[30:31], v[30:31], v[91:92], -v[57:58]
	v_mul_f64 v[57:58], v[32:33], v[89:90]
	v_fma_f64 v[32:33], v[32:33], v[87:88], v[59:60]
	v_fma_f64 v[34:35], v[34:35], v[87:88], -v[57:58]
	v_mul_f64 v[57:58], v[53:54], v[101:102]
	v_fma_f64 v[53:54], v[53:54], v[99:100], v[61:62]
	s_delay_alu instid0(VALU_DEP_2)
	v_fma_f64 v[55:56], v[55:56], v[99:100], -v[57:58]
	global_load_b128 v[65:68], v[42:43], off offset:1792
	global_load_b128 v[57:60], v[48:49], off
	v_add_co_u32 v48, vcc_lo, v48, s3
	v_add_co_ci_u32_e32 v49, vcc_lo, s2, v49, vcc_lo
	s_waitcnt vmcnt(1)
	scratch_store_b128 off, v[65:68], off offset:764 ; 16-byte Folded Spill
	s_waitcnt vmcnt(0)
	v_mul_f64 v[61:62], v[59:60], v[67:68]
	v_mul_f64 v[63:64], v[57:58], v[67:68]
	s_delay_alu instid0(VALU_DEP_2) | instskip(NEXT) | instid1(VALU_DEP_2)
	v_fma_f64 v[57:58], v[57:58], v[65:66], v[61:62]
	v_fma_f64 v[59:60], v[59:60], v[65:66], -v[63:64]
	global_load_b128 v[69:72], v[38:39], off offset:2096
	global_load_b128 v[61:64], v[48:49], off
	v_add_co_u32 v48, vcc_lo, v48, s3
	v_add_co_ci_u32_e32 v49, vcc_lo, s2, v49, vcc_lo
	s_waitcnt vmcnt(1)
	scratch_store_b128 off, v[69:72], off offset:652 ; 16-byte Folded Spill
	s_waitcnt vmcnt(0)
	v_mul_f64 v[65:66], v[63:64], v[71:72]
	v_mul_f64 v[67:68], v[61:62], v[71:72]
	s_delay_alu instid0(VALU_DEP_2) | instskip(NEXT) | instid1(VALU_DEP_2)
	v_fma_f64 v[61:62], v[61:62], v[69:70], v[65:66]
	;; [unrolled: 12-line block ×4, first 2 shown]
	v_fma_f64 v[71:72], v[71:72], v[77:78], -v[75:76]
	global_load_b128 v[81:84], v226, s[8:9] offset:1760
	global_load_b128 v[73:76], v[48:49], off
	v_add_co_u32 v48, vcc_lo, v48, s3
	v_add_co_ci_u32_e32 v49, vcc_lo, s2, v49, vcc_lo
	s_waitcnt vmcnt(1)
	scratch_store_b128 off, v[81:84], off offset:668 ; 16-byte Folded Spill
	s_waitcnt vmcnt(0)
	v_mul_f64 v[77:78], v[75:76], v[83:84]
	v_mul_f64 v[79:80], v[73:74], v[83:84]
	s_delay_alu instid0(VALU_DEP_2) | instskip(NEXT) | instid1(VALU_DEP_2)
	v_fma_f64 v[73:74], v[73:74], v[81:82], v[77:78]
	v_fma_f64 v[75:76], v[75:76], v[81:82], -v[79:80]
	global_load_b128 v[85:88], v[36:37], off offset:2064
	global_load_b128 v[77:80], v[48:49], off
	v_add_co_u32 v48, vcc_lo, v48, s3
	v_add_co_ci_u32_e32 v49, vcc_lo, s2, v49, vcc_lo
	s_waitcnt vmcnt(1)
	scratch_store_b128 off, v[85:88], off offset:684 ; 16-byte Folded Spill
	s_waitcnt vmcnt(0)
	v_mul_f64 v[81:82], v[79:80], v[87:88]
	v_mul_f64 v[83:84], v[77:78], v[87:88]
	s_delay_alu instid0(VALU_DEP_2) | instskip(NEXT) | instid1(VALU_DEP_2)
	v_fma_f64 v[77:78], v[77:78], v[85:86], v[81:82]
	v_fma_f64 v[79:80], v[79:80], v[85:86], -v[83:84]
	global_load_b128 v[89:92], v[46:47], off offset:2368
	global_load_b128 v[81:84], v[48:49], off
	v_add_co_u32 v48, vcc_lo, v48, s3
	v_add_co_ci_u32_e32 v49, vcc_lo, s2, v49, vcc_lo
	s_waitcnt vmcnt(1)
	scratch_store_b128 off, v[89:92], off offset:732 ; 16-byte Folded Spill
	s_waitcnt vmcnt(0)
	v_mul_f64 v[85:86], v[83:84], v[91:92]
	v_mul_f64 v[87:88], v[81:82], v[91:92]
	s_delay_alu instid0(VALU_DEP_2) | instskip(NEXT) | instid1(VALU_DEP_2)
	v_fma_f64 v[81:82], v[81:82], v[89:90], v[85:86]
	v_fma_f64 v[83:84], v[83:84], v[89:90], -v[87:88]
	global_load_b128 v[93:96], v[42:43], off offset:2672
	global_load_b128 v[85:88], v[48:49], off
	v_add_co_u32 v48, vcc_lo, v48, s3
	v_add_co_ci_u32_e32 v49, vcc_lo, s2, v49, vcc_lo
	s_waitcnt vmcnt(1)
	scratch_store_b128 off, v[93:96], off offset:700 ; 16-byte Folded Spill
	s_waitcnt vmcnt(0)
	v_mul_f64 v[89:90], v[87:88], v[95:96]
	v_mul_f64 v[91:92], v[85:86], v[95:96]
	s_delay_alu instid0(VALU_DEP_2) | instskip(NEXT) | instid1(VALU_DEP_2)
	v_fma_f64 v[85:86], v[85:86], v[93:94], v[89:90]
	v_fma_f64 v[87:88], v[87:88], v[93:94], -v[91:92]
	global_load_b128 v[97:100], v[38:39], off offset:2976
	global_load_b128 v[89:92], v[48:49], off
	v_add_co_u32 v48, vcc_lo, v48, s3
	v_add_co_ci_u32_e32 v49, vcc_lo, s2, v49, vcc_lo
	s_waitcnt vmcnt(1)
	scratch_store_b128 off, v[97:100], off offset:716 ; 16-byte Folded Spill
	s_waitcnt vmcnt(0)
	v_mul_f64 v[93:94], v[91:92], v[99:100]
	v_mul_f64 v[95:96], v[89:90], v[99:100]
	s_delay_alu instid0(VALU_DEP_2) | instskip(NEXT) | instid1(VALU_DEP_2)
	v_fma_f64 v[89:90], v[89:90], v[97:98], v[93:94]
	v_fma_f64 v[91:92], v[91:92], v[97:98], -v[95:96]
	global_load_b128 v[101:104], v[40:41], off offset:3280
	global_load_b128 v[93:96], v[48:49], off
	v_add_co_u32 v48, vcc_lo, v48, s3
	v_add_co_ci_u32_e32 v49, vcc_lo, s2, v49, vcc_lo
	s_waitcnt vmcnt(1)
	scratch_store_b128 off, v[101:104], off offset:748 ; 16-byte Folded Spill
	s_waitcnt vmcnt(0)
	v_mul_f64 v[97:98], v[95:96], v[103:104]
	v_mul_f64 v[99:100], v[93:94], v[103:104]
	s_delay_alu instid0(VALU_DEP_2) | instskip(NEXT) | instid1(VALU_DEP_2)
	v_fma_f64 v[93:94], v[93:94], v[101:102], v[97:98]
	v_fma_f64 v[95:96], v[95:96], v[101:102], -v[99:100]
	global_load_b128 v[105:108], v[44:45], off offset:3584
	global_load_b128 v[97:100], v[48:49], off
	v_add_co_u32 v48, vcc_lo, v48, s5
	v_add_co_ci_u32_e32 v49, vcc_lo, s4, v49, vcc_lo
	s_waitcnt vmcnt(1)
	scratch_store_b128 off, v[105:108], off offset:572 ; 16-byte Folded Spill
	s_waitcnt vmcnt(0)
	v_mul_f64 v[101:102], v[99:100], v[107:108]
	v_mul_f64 v[103:104], v[97:98], v[107:108]
	s_delay_alu instid0(VALU_DEP_2) | instskip(NEXT) | instid1(VALU_DEP_2)
	v_fma_f64 v[97:98], v[97:98], v[105:106], v[101:102]
	v_fma_f64 v[99:100], v[99:100], v[105:106], -v[103:104]
	global_load_b128 v[109:112], v226, s[8:9] offset:2640
	global_load_b128 v[101:104], v[48:49], off
	v_add_co_u32 v48, vcc_lo, v48, s3
	v_add_co_ci_u32_e32 v49, vcc_lo, s2, v49, vcc_lo
	s_waitcnt vmcnt(1)
	scratch_store_b128 off, v[109:112], off offset:556 ; 16-byte Folded Spill
	s_waitcnt vmcnt(0)
	v_mul_f64 v[105:106], v[103:104], v[111:112]
	v_mul_f64 v[107:108], v[101:102], v[111:112]
	s_delay_alu instid0(VALU_DEP_2) | instskip(NEXT) | instid1(VALU_DEP_2)
	v_fma_f64 v[101:102], v[101:102], v[109:110], v[105:106]
	v_fma_f64 v[103:104], v[103:104], v[109:110], -v[107:108]
	global_load_b128 v[113:116], v[36:37], off offset:2944
	global_load_b128 v[105:108], v[48:49], off
	s_waitcnt vmcnt(1)
	scratch_store_b128 off, v[113:116], off offset:588 ; 16-byte Folded Spill
	s_waitcnt vmcnt(0)
	v_mul_f64 v[109:110], v[107:108], v[115:116]
	v_mul_f64 v[111:112], v[105:106], v[115:116]
	s_delay_alu instid0(VALU_DEP_2)
	v_fma_f64 v[105:106], v[105:106], v[113:114], v[109:110]
	v_add_co_u32 v109, vcc_lo, v48, s3
	v_add_co_ci_u32_e32 v110, vcc_lo, s2, v49, vcc_lo
	global_load_b128 v[115:118], v[46:47], off offset:3248
	global_load_b128 v[46:49], v[109:110], off
	v_fma_f64 v[107:108], v[107:108], v[113:114], -v[111:112]
	s_waitcnt vmcnt(1)
	scratch_store_b128 off, v[115:118], off offset:620 ; 16-byte Folded Spill
	s_waitcnt vmcnt(0)
	v_mul_f64 v[113:114], v[46:47], v[117:118]
	v_mul_f64 v[111:112], v[48:49], v[117:118]
	s_delay_alu instid0(VALU_DEP_2) | instskip(SKIP_2) | instid1(VALU_DEP_4)
	v_fma_f64 v[48:49], v[48:49], v[115:116], -v[113:114]
	v_add_co_u32 v113, vcc_lo, v109, s3
	v_add_co_ci_u32_e32 v114, vcc_lo, s2, v110, vcc_lo
	v_fma_f64 v[46:47], v[46:47], v[115:116], v[111:112]
	global_load_b128 v[119:122], v[42:43], off offset:3552
	global_load_b128 v[109:112], v[113:114], off
	s_waitcnt vmcnt(1)
	scratch_store_b128 off, v[119:122], off offset:524 ; 16-byte Folded Spill
	s_waitcnt vmcnt(0)
	v_mul_f64 v[117:118], v[109:110], v[121:122]
	v_mul_f64 v[115:116], v[111:112], v[121:122]
	s_delay_alu instid0(VALU_DEP_2) | instskip(SKIP_2) | instid1(VALU_DEP_4)
	v_fma_f64 v[111:112], v[111:112], v[119:120], -v[117:118]
	v_add_co_u32 v117, vcc_lo, v113, s3
	v_add_co_ci_u32_e32 v118, vcc_lo, s2, v114, vcc_lo
	v_fma_f64 v[109:110], v[109:110], v[119:120], v[115:116]
	global_load_b128 v[123:126], v[38:39], off offset:3856
	global_load_b128 v[113:116], v[117:118], off
	;; [unrolled: 12-line block ×3, first 2 shown]
	s_waitcnt vmcnt(1)
	scratch_store_b128 off, v[127:130], off offset:380 ; 16-byte Folded Spill
	s_waitcnt vmcnt(0)
	v_mul_f64 v[125:126], v[117:118], v[129:130]
	v_mul_f64 v[123:124], v[119:120], v[129:130]
	s_delay_alu instid0(VALU_DEP_2)
	v_fma_f64 v[119:120], v[119:120], v[127:128], -v[125:126]
	v_add_co_u32 v125, vcc_lo, v121, s3
	v_add_co_ci_u32_e32 v126, vcc_lo, s2, v122, vcc_lo
	v_add_co_u32 v51, vcc_lo, 0x7000, v51
	v_add_co_ci_u32_e32 v52, vcc_lo, 0, v52, vcc_lo
	v_fma_f64 v[117:118], v[117:118], v[127:128], v[123:124]
	global_load_b128 v[131:134], v[51:52], off offset:368
	global_load_b128 v[121:124], v[125:126], off
	s_waitcnt vmcnt(1)
	scratch_store_b128 off, v[131:134], off offset:396 ; 16-byte Folded Spill
	s_waitcnt vmcnt(0)
	v_mul_f64 v[129:130], v[121:122], v[133:134]
	v_mul_f64 v[127:128], v[123:124], v[133:134]
	s_delay_alu instid0(VALU_DEP_2) | instskip(SKIP_2) | instid1(VALU_DEP_4)
	v_fma_f64 v[123:124], v[123:124], v[131:132], -v[129:130]
	v_add_co_u32 v129, vcc_lo, v125, s5
	v_add_co_ci_u32_e32 v130, vcc_lo, s4, v126, vcc_lo
	v_fma_f64 v[121:122], v[121:122], v[131:132], v[127:128]
	global_load_b128 v[135:138], v226, s[8:9] offset:3520
	global_load_b128 v[125:128], v[129:130], off
	s_waitcnt vmcnt(1)
	scratch_store_b128 off, v[135:138], off offset:444 ; 16-byte Folded Spill
	s_waitcnt vmcnt(0)
	v_mul_f64 v[133:134], v[125:126], v[137:138]
	v_mul_f64 v[131:132], v[127:128], v[137:138]
	s_delay_alu instid0(VALU_DEP_2) | instskip(SKIP_2) | instid1(VALU_DEP_4)
	v_fma_f64 v[127:128], v[127:128], v[135:136], -v[133:134]
	v_add_co_u32 v133, vcc_lo, v129, s3
	v_add_co_ci_u32_e32 v134, vcc_lo, s2, v130, vcc_lo
	v_fma_f64 v[125:126], v[125:126], v[135:136], v[131:132]
	global_load_b128 v[137:140], v[36:37], off offset:3824
	global_load_b128 v[129:132], v[133:134], off
	s_waitcnt vmcnt(1)
	scratch_store_b128 off, v[137:140], off offset:412 ; 16-byte Folded Spill
	s_waitcnt vmcnt(0)
	v_mul_f64 v[36:37], v[131:132], v[139:140]
	v_mul_f64 v[135:136], v[129:130], v[139:140]
	s_delay_alu instid0(VALU_DEP_2) | instskip(SKIP_2) | instid1(VALU_DEP_4)
	v_fma_f64 v[129:130], v[129:130], v[137:138], v[36:37]
	v_add_co_u32 v36, vcc_lo, v133, s3
	v_add_co_ci_u32_e32 v37, vcc_lo, s2, v134, vcc_lo
	v_fma_f64 v[131:132], v[131:132], v[137:138], -v[135:136]
	global_load_b128 v[139:142], v[42:43], off offset:32
	global_load_b128 v[133:136], v[36:37], off
	s_waitcnt vmcnt(1)
	scratch_store_b128 off, v[139:142], off offset:428 ; 16-byte Folded Spill
	s_waitcnt vmcnt(0)
	v_mul_f64 v[42:43], v[135:136], v[141:142]
	v_mul_f64 v[137:138], v[133:134], v[141:142]
	s_delay_alu instid0(VALU_DEP_2)
	v_fma_f64 v[133:134], v[133:134], v[139:140], v[42:43]
	v_add_co_u32 v42, vcc_lo, v36, s3
	v_add_co_ci_u32_e32 v43, vcc_lo, s2, v37, vcc_lo
	global_load_b128 v[141:144], v[38:39], off offset:336
	global_load_b128 v[36:39], v[42:43], off
	v_fma_f64 v[135:136], v[135:136], v[139:140], -v[137:138]
	s_waitcnt vmcnt(1)
	scratch_store_b128 off, v[141:144], off offset:460 ; 16-byte Folded Spill
	s_waitcnt vmcnt(0)
	v_mul_f64 v[137:138], v[38:39], v[143:144]
	v_mul_f64 v[139:140], v[36:37], v[143:144]
	s_delay_alu instid0(VALU_DEP_2)
	v_fma_f64 v[36:37], v[36:37], v[141:142], v[137:138]
	v_add_co_u32 v137, vcc_lo, v42, s3
	v_add_co_ci_u32_e32 v138, vcc_lo, s2, v43, vcc_lo
	global_load_b128 v[143:146], v[40:41], off offset:640
	global_load_b128 v[40:43], v[137:138], off
	v_fma_f64 v[38:39], v[38:39], v[141:142], -v[139:140]
	s_waitcnt vmcnt(1)
	scratch_store_b128 off, v[143:146], off offset:476 ; 16-byte Folded Spill
	s_waitcnt vmcnt(0)
	v_mul_f64 v[141:142], v[40:41], v[145:146]
	v_mul_f64 v[139:140], v[42:43], v[145:146]
	s_delay_alu instid0(VALU_DEP_2) | instskip(SKIP_2) | instid1(VALU_DEP_4)
	v_fma_f64 v[42:43], v[42:43], v[143:144], -v[141:142]
	v_add_co_u32 v141, vcc_lo, v137, s3
	v_add_co_ci_u32_e32 v142, vcc_lo, s2, v138, vcc_lo
	v_fma_f64 v[40:41], v[40:41], v[143:144], v[139:140]
	global_load_b128 v[145:148], v[44:45], off offset:944
	global_load_b128 v[137:140], v[141:142], off
	s_waitcnt vmcnt(1)
	scratch_store_b128 off, v[145:148], off offset:492 ; 16-byte Folded Spill
	s_waitcnt vmcnt(0)
	v_mul_f64 v[44:45], v[139:140], v[147:148]
	v_mul_f64 v[143:144], v[137:138], v[147:148]
	s_delay_alu instid0(VALU_DEP_2) | instskip(SKIP_2) | instid1(VALU_DEP_4)
	v_fma_f64 v[137:138], v[137:138], v[145:146], v[44:45]
	v_add_co_u32 v44, vcc_lo, v141, s3
	v_add_co_ci_u32_e32 v45, vcc_lo, s2, v142, vcc_lo
	v_fma_f64 v[139:140], v[139:140], v[145:146], -v[143:144]
	global_load_b128 v[145:148], v[51:52], off offset:1248
	global_load_b128 v[141:144], v[44:45], off
	s_mov_b32 s2, 0x36b3c0b5
	s_mov_b32 s3, 0x3fac98ee
	v_cmp_gt_u16_e32 vcc_lo, 10, v50
	s_waitcnt vmcnt(1)
	scratch_store_b128 off, v[145:148], off offset:508 ; 16-byte Folded Spill
	s_waitcnt vmcnt(0)
	v_mul_f64 v[44:45], v[143:144], v[147:148]
	v_mul_f64 v[51:52], v[141:142], v[147:148]
	s_delay_alu instid0(VALU_DEP_2) | instskip(NEXT) | instid1(VALU_DEP_2)
	v_fma_f64 v[141:142], v[141:142], v[145:146], v[44:45]
	v_fma_f64 v[143:144], v[143:144], v[145:146], -v[51:52]
	ds_store_b128 v226, v[0:3]
	ds_store_b128 v226, v[4:7] offset:4400
	ds_store_b128 v226, v[8:11] offset:8800
	;; [unrolled: 1-line block ×34, first 2 shown]
	s_load_b128 s[4:7], s[6:7], 0x0
	s_waitcnt lgkmcnt(0)
	s_waitcnt_vscnt null, 0x0
	s_barrier
	buffer_gl0_inv
	ds_load_b128 v[0:3], v226 offset:4400
	ds_load_b128 v[8:11], v226 offset:26400
	s_waitcnt lgkmcnt(0)
	v_add_f64 v[4:5], v[0:1], v[8:9]
	v_add_f64 v[6:7], v[2:3], v[10:11]
	v_add_f64 v[16:17], v[0:1], -v[8:9]
	v_add_f64 v[18:19], v[2:3], -v[10:11]
	ds_load_b128 v[0:3], v226 offset:22000
	ds_load_b128 v[8:11], v226 offset:8800
	s_waitcnt lgkmcnt(0)
	v_add_f64 v[34:35], v[8:9], v[0:1]
	v_add_f64 v[32:33], v[10:11], v[2:3]
	v_add_f64 v[30:31], v[8:9], -v[0:1]
	v_add_f64 v[28:29], v[10:11], -v[2:3]
	;; [unrolled: 7-line block ×3, first 2 shown]
	ds_load_b128 v[0:3], v226 offset:27280
	ds_load_b128 v[8:11], v226 offset:5280
	v_add_f64 v[59:60], v[34:35], -v[4:5]
	v_add_f64 v[165:166], v[32:33], -v[6:7]
	;; [unrolled: 1-line block ×4, first 2 shown]
	s_waitcnt lgkmcnt(0)
	v_add_f64 v[36:37], v[8:9], v[0:1]
	v_add_f64 v[38:39], v[10:11], v[2:3]
	v_add_f64 v[40:41], v[8:9], -v[0:1]
	v_add_f64 v[42:43], v[10:11], -v[2:3]
	ds_load_b128 v[0:3], v226 offset:9680
	ds_load_b128 v[8:11], v226 offset:22880
	v_add_f64 v[61:62], v[20:21], -v[34:35]
	v_add_f64 v[167:168], v[22:23], -v[32:33]
	;; [unrolled: 1-line block ×3, first 2 shown]
	s_waitcnt lgkmcnt(0)
	v_add_f64 v[48:49], v[0:1], v[8:9]
	v_add_f64 v[63:64], v[2:3], v[10:11]
	v_add_f64 v[65:66], v[0:1], -v[8:9]
	v_add_f64 v[67:68], v[2:3], -v[10:11]
	ds_load_b128 v[0:3], v226 offset:18480
	ds_load_b128 v[8:11], v226 offset:14080
	s_waitcnt lgkmcnt(0)
	v_add_f64 v[71:72], v[8:9], v[0:1]
	v_add_f64 v[73:74], v[10:11], v[2:3]
	v_add_f64 v[75:76], v[0:1], -v[8:9]
	v_add_f64 v[77:78], v[2:3], -v[10:11]
	ds_load_b128 v[0:3], v226 offset:6160
	ds_load_b128 v[8:11], v226 offset:28160
	v_mul_f64 v[171:172], v[171:172], s[28:29]
	s_waitcnt lgkmcnt(0)
	v_add_f64 v[87:88], v[0:1], v[8:9]
	v_add_f64 v[89:90], v[2:3], v[10:11]
	v_add_f64 v[91:92], v[0:1], -v[8:9]
	v_add_f64 v[93:94], v[2:3], -v[10:11]
	ds_load_b128 v[0:3], v226 offset:23760
	ds_load_b128 v[8:11], v226 offset:10560
	s_waitcnt lgkmcnt(0)
	v_add_f64 v[79:80], v[8:9], v[0:1]
	v_add_f64 v[81:82], v[10:11], v[2:3]
	v_add_f64 v[83:84], v[8:9], -v[0:1]
	v_add_f64 v[85:86], v[10:11], -v[2:3]
	ds_load_b128 v[0:3], v226 offset:14960
	ds_load_b128 v[8:11], v226 offset:19360
	;; [unrolled: 7-line block ×8, first 2 shown]
	s_waitcnt lgkmcnt(0)
	v_add_f64 v[143:144], v[8:9], v[0:1]
	v_add_f64 v[147:148], v[0:1], -v[8:9]
	v_add_f64 v[0:1], v[34:35], v[4:5]
	v_add_f64 v[145:146], v[10:11], v[2:3]
	v_add_f64 v[34:35], v[24:25], -v[30:31]
	v_add_f64 v[4:5], v[4:5], -v[20:21]
	v_add_f64 v[149:150], v[2:3], -v[10:11]
	v_add_f64 v[8:9], v[127:128], v[135:136]
	v_add_f64 v[55:56], v[20:21], v[0:1]
	;; [unrolled: 1-line block ×5, first 2 shown]
	v_add_f64 v[6:7], v[6:7], -v[22:23]
	v_mul_f64 v[179:180], v[34:35], s[28:29]
	v_add_f64 v[20:21], v[16:17], -v[24:25]
	v_mul_f64 v[4:5], v[4:5], s[18:19]
	v_mul_f64 v[28:29], v[61:62], s[2:3]
	v_add_f64 v[161:162], v[143:144], v[8:9]
	v_add_f64 v[8:9], v[129:130], v[137:138]
	;; [unrolled: 1-line block ×3, first 2 shown]
	ds_load_b128 v[0:3], v226
	v_add_f64 v[175:176], v[32:33], v[16:17]
	v_add_f64 v[177:178], v[30:31], v[18:19]
	v_add_f64 v[22:23], v[18:19], -v[26:27]
	v_mul_f64 v[16:17], v[169:170], s[16:17]
	v_mul_f64 v[18:19], v[173:174], s[16:17]
	;; [unrolled: 1-line block ×4, first 2 shown]
	v_fma_f64 v[24:25], v[59:60], s[20:21], -v[4:5]
	v_fma_f64 v[4:5], v[61:62], s[2:3], v[4:5]
	v_fma_f64 v[28:29], v[59:60], s[26:27], -v[28:29]
	v_add_f64 v[163:164], v[145:146], v[8:9]
	ds_load_b128 v[8:11], v226 offset:3520
	v_fma_f64 v[32:33], v[169:170], s[16:17], -v[179:180]
	v_add_f64 v[169:170], v[67:68], -v[42:43]
	s_waitcnt lgkmcnt(1)
	v_add_f64 v[44:45], v[0:1], v[55:56]
	v_add_f64 v[0:1], v[48:49], v[36:37]
	s_waitcnt lgkmcnt(0)
	v_add_f64 v[8:9], v[8:9], v[161:162]
	v_add_f64 v[46:47], v[2:3], v[57:58]
	v_fma_f64 v[16:17], v[20:21], s[22:23], -v[16:17]
	v_fma_f64 v[18:19], v[22:23], s[22:23], -v[18:19]
	v_fma_f64 v[26:27], v[165:166], s[20:21], -v[6:7]
	v_fma_f64 v[20:21], v[20:21], s[14:15], v[179:180]
	v_fma_f64 v[22:23], v[22:23], s[14:15], v[171:172]
	;; [unrolled: 1-line block ×3, first 2 shown]
	v_fma_f64 v[30:31], v[165:166], s[26:27], -v[30:31]
	v_add_f64 v[167:168], v[77:78], -v[67:68]
	v_add_f64 v[10:11], v[10:11], v[163:164]
	v_fma_f64 v[34:35], v[175:176], s[12:13], v[32:33]
	v_fma_f64 v[32:33], v[173:174], s[16:17], -v[171:172]
	v_fma_f64 v[55:56], v[55:56], s[24:25], v[44:45]
	v_add_f64 v[69:70], v[71:72], v[0:1]
	v_add_f64 v[0:1], v[63:64], v[38:39]
	v_fma_f64 v[161:162], v[161:162], s[24:25], v[8:9]
	v_fma_f64 v[57:58], v[57:58], s[24:25], v[46:47]
	;; [unrolled: 1-line block ×6, first 2 shown]
	v_mul_f64 v[167:168], v[167:168], s[28:29]
	v_fma_f64 v[163:164], v[163:164], s[24:25], v[10:11]
	v_fma_f64 v[32:33], v[177:178], s[12:13], v[32:33]
	v_add_f64 v[24:25], v[24:25], v[55:56]
	v_add_f64 v[4:5], v[4:5], v[55:56]
	;; [unrolled: 1-line block ×4, first 2 shown]
	ds_load_b128 v[0:3], v226 offset:880
	v_add_f64 v[26:27], v[26:27], v[57:58]
	v_add_f64 v[6:7], v[6:7], v[57:58]
	;; [unrolled: 1-line block ×3, first 2 shown]
	s_waitcnt lgkmcnt(0)
	v_add_f64 v[51:52], v[0:1], v[69:70]
	v_add_f64 v[0:1], v[79:80], v[87:88]
	v_add_f64 v[16:17], v[24:25], v[165:166]
	v_add_f64 v[24:25], v[24:25], -v[165:166]
	v_add_f64 v[55:56], v[4:5], v[22:23]
	v_add_f64 v[165:166], v[65:66], -v[40:41]
	v_add_f64 v[53:54], v[2:3], v[151:152]
	;; [unrolled: 2-line block ×4, first 2 shown]
	v_add_f64 v[57:58], v[6:7], -v[20:21]
	v_add_f64 v[59:60], v[4:5], -v[22:23]
	v_add_f64 v[61:62], v[20:21], v[6:7]
	v_add_f64 v[4:5], v[48:49], -v[36:37]
	v_add_f64 v[6:7], v[71:72], -v[48:49]
	;; [unrolled: 1-line block ×4, first 2 shown]
	v_add_f64 v[48:49], v[75:76], v[65:66]
	v_add_f64 v[63:64], v[75:76], -v[65:66]
	v_add_f64 v[65:66], v[77:78], v[67:68]
	v_add_f64 v[36:37], v[36:37], -v[71:72]
	v_add_f64 v[38:39], v[38:39], -v[73:74]
	;; [unrolled: 1-line block ×4, first 2 shown]
	v_fma_f64 v[175:176], v[69:70], s[24:25], v[51:52]
	v_add_f64 v[153:154], v[95:96], v[0:1]
	v_add_f64 v[0:1], v[81:82], v[89:90]
	;; [unrolled: 1-line block ×3, first 2 shown]
	v_add_f64 v[34:35], v[183:184], -v[34:35]
	v_fma_f64 v[151:152], v[151:152], s[24:25], v[53:54]
	v_add_f64 v[48:49], v[48:49], v[40:41]
	v_mul_f64 v[173:174], v[63:64], s[28:29]
	v_add_f64 v[171:172], v[65:66], v[42:43]
	v_mul_f64 v[63:64], v[6:7], s[2:3]
	v_mul_f64 v[65:66], v[22:23], s[2:3]
	;; [unrolled: 1-line block ×6, first 2 shown]
	v_add_f64 v[155:156], v[97:98], v[0:1]
	ds_load_b128 v[0:3], v226 offset:1760
	s_waitcnt lgkmcnt(0)
	v_add_f64 v[12:13], v[0:1], v[153:154]
	v_add_f64 v[0:1], v[103:104], v[111:112]
	v_fma_f64 v[67:68], v[165:166], s[16:17], -v[173:174]
	v_add_f64 v[165:166], v[85:86], -v[93:94]
	v_fma_f64 v[63:64], v[4:5], s[26:27], -v[63:64]
	v_fma_f64 v[65:66], v[20:21], s[26:27], -v[65:66]
	;; [unrolled: 1-line block ×6, first 2 shown]
	v_fma_f64 v[6:7], v[6:7], s[2:3], v[75:76]
	v_fma_f64 v[22:23], v[22:23], s[2:3], v[77:78]
	v_add_f64 v[14:15], v[2:3], v[155:156]
	v_fma_f64 v[153:154], v[153:154], s[24:25], v[12:13]
	v_add_f64 v[157:158], v[119:120], v[0:1]
	v_add_f64 v[0:1], v[105:106], v[113:114]
	v_fma_f64 v[69:70], v[48:49], s[12:13], v[67:68]
	v_fma_f64 v[67:68], v[169:170], s[16:17], -v[167:168]
	v_add_f64 v[177:178], v[63:64], v[175:176]
	v_add_f64 v[179:180], v[65:66], v[151:152]
	v_fma_f64 v[42:43], v[48:49], s[12:13], v[36:37]
	v_fma_f64 v[40:41], v[171:172], s[12:13], v[38:39]
	v_add_f64 v[4:5], v[4:5], v[175:176]
	v_add_f64 v[20:21], v[20:21], v[151:152]
	;; [unrolled: 1-line block ×4, first 2 shown]
	v_add_f64 v[151:152], v[83:84], -v[91:92]
	v_fma_f64 v[155:156], v[155:156], s[24:25], v[14:15]
	v_add_f64 v[159:160], v[121:122], v[0:1]
	ds_load_b128 v[0:3], v226 offset:2640
	s_waitcnt lgkmcnt(0)
	s_barrier
	buffer_gl0_inv
	v_fma_f64 v[67:68], v[171:172], s[12:13], v[67:68]
	v_add_f64 v[65:66], v[69:70], v[179:180]
	v_add_f64 v[69:70], v[179:180], -v[69:70]
	v_add_f64 v[36:37], v[4:5], v[40:41]
	v_add_f64 v[38:39], v[20:21], -v[42:43]
	v_add_f64 v[40:41], v[4:5], -v[40:41]
	v_add_f64 v[42:43], v[42:43], v[20:21]
	v_fma_f64 v[4:5], v[71:72], s[14:15], v[173:174]
	v_fma_f64 v[20:21], v[73:74], s[14:15], v[167:168]
	v_add_f64 v[0:1], v[0:1], v[157:158]
	v_add_f64 v[2:3], v[2:3], v[159:160]
	v_add_f64 v[63:64], v[177:178], -v[67:68]
	v_add_f64 v[67:68], v[177:178], v[67:68]
	v_fma_f64 v[4:5], v[48:49], s[12:13], v[4:5]
	v_fma_f64 v[20:21], v[171:172], s[12:13], v[20:21]
	v_add_f64 v[48:49], v[99:100], v[83:84]
	v_fma_f64 v[157:158], v[157:158], s[24:25], v[0:1]
	v_fma_f64 v[159:160], v[159:160], s[24:25], v[2:3]
	v_add_f64 v[73:74], v[22:23], -v[4:5]
	v_add_f64 v[71:72], v[6:7], v[20:21]
	v_add_f64 v[75:76], v[6:7], -v[20:21]
	v_add_f64 v[77:78], v[4:5], v[22:23]
	v_add_f64 v[4:5], v[79:80], -v[87:88]
	v_add_f64 v[6:7], v[95:96], -v[79:80]
	;; [unrolled: 1-line block ×5, first 2 shown]
	v_add_f64 v[81:82], v[101:102], v[85:86]
	v_add_f64 v[87:88], v[87:88], -v[95:96]
	v_add_f64 v[89:90], v[89:90], -v[97:98]
	;; [unrolled: 1-line block ×3, first 2 shown]
	v_add_f64 v[48:49], v[48:49], v[91:92]
	v_add_f64 v[95:96], v[91:92], -v[99:100]
	v_add_f64 v[97:98], v[93:94], -v[101:102]
	v_mul_f64 v[91:92], v[151:152], s[16:17]
	v_mul_f64 v[169:170], v[79:80], s[28:29]
	v_add_f64 v[167:168], v[81:82], v[93:94]
	v_mul_f64 v[79:80], v[6:7], s[2:3]
	v_mul_f64 v[81:82], v[22:23], s[2:3]
	;; [unrolled: 1-line block ×6, first 2 shown]
	v_fma_f64 v[87:88], v[95:96], s[22:23], -v[91:92]
	v_fma_f64 v[83:84], v[151:152], s[16:17], -v[169:170]
	v_add_f64 v[151:152], v[107:108], -v[115:116]
	v_fma_f64 v[79:80], v[4:5], s[26:27], -v[79:80]
	v_fma_f64 v[81:82], v[20:21], s[26:27], -v[81:82]
	;; [unrolled: 1-line block ×5, first 2 shown]
	v_fma_f64 v[6:7], v[6:7], s[2:3], v[99:100]
	v_fma_f64 v[93:94], v[48:49], s[12:13], v[87:88]
	;; [unrolled: 1-line block ×4, first 2 shown]
	v_fma_f64 v[83:84], v[165:166], s[16:17], -v[171:172]
	v_add_f64 v[173:174], v[79:80], v[153:154]
	v_add_f64 v[175:176], v[81:82], v[155:156]
	v_fma_f64 v[91:92], v[167:168], s[12:13], v[89:90]
	v_add_f64 v[4:5], v[4:5], v[153:154]
	v_add_f64 v[20:21], v[20:21], v[155:156]
	;; [unrolled: 1-line block ×3, first 2 shown]
	v_add_f64 v[153:154], v[109:110], -v[117:118]
	v_add_f64 v[22:23], v[22:23], v[155:156]
	v_fma_f64 v[83:84], v[167:168], s[12:13], v[83:84]
	v_add_f64 v[81:82], v[85:86], v[175:176]
	v_add_f64 v[85:86], v[175:176], -v[85:86]
	v_add_f64 v[87:88], v[4:5], v[91:92]
	v_add_f64 v[89:90], v[20:21], -v[93:94]
	v_add_f64 v[91:92], v[4:5], -v[91:92]
	v_add_f64 v[93:94], v[93:94], v[20:21]
	v_fma_f64 v[4:5], v[95:96], s[14:15], v[169:170]
	v_fma_f64 v[20:21], v[97:98], s[14:15], v[171:172]
	v_add_f64 v[79:80], v[173:174], -v[83:84]
	v_add_f64 v[83:84], v[173:174], v[83:84]
	s_delay_alu instid0(VALU_DEP_4) | instskip(NEXT) | instid1(VALU_DEP_4)
	v_fma_f64 v[4:5], v[48:49], s[12:13], v[4:5]
	v_fma_f64 v[20:21], v[167:168], s[12:13], v[20:21]
	v_add_f64 v[48:49], v[123:124], v[107:108]
	s_delay_alu instid0(VALU_DEP_3) | instskip(NEXT) | instid1(VALU_DEP_3)
	v_add_f64 v[97:98], v[22:23], -v[4:5]
	v_add_f64 v[95:96], v[6:7], v[20:21]
	v_add_f64 v[99:100], v[6:7], -v[20:21]
	v_add_f64 v[101:102], v[4:5], v[22:23]
	v_add_f64 v[4:5], v[103:104], -v[111:112]
	v_add_f64 v[6:7], v[119:120], -v[103:104]
	;; [unrolled: 1-line block ×5, first 2 shown]
	v_add_f64 v[105:106], v[125:126], v[109:110]
	v_add_f64 v[111:112], v[111:112], -v[119:120]
	v_add_f64 v[113:114], v[113:114], -v[121:122]
	;; [unrolled: 1-line block ×3, first 2 shown]
	v_add_f64 v[48:49], v[48:49], v[115:116]
	v_add_f64 v[119:120], v[115:116], -v[123:124]
	v_add_f64 v[121:122], v[117:118], -v[125:126]
	v_mul_f64 v[115:116], v[151:152], s[16:17]
	v_mul_f64 v[165:166], v[103:104], s[28:29]
	v_add_f64 v[155:156], v[105:106], v[117:118]
	v_mul_f64 v[103:104], v[6:7], s[2:3]
	v_mul_f64 v[105:106], v[22:23], s[2:3]
	;; [unrolled: 1-line block ×6, first 2 shown]
	v_fma_f64 v[111:112], v[119:120], s[22:23], -v[115:116]
	v_fma_f64 v[107:108], v[151:152], s[16:17], -v[165:166]
	v_add_f64 v[151:152], v[131:132], -v[139:140]
	v_fma_f64 v[103:104], v[4:5], s[26:27], -v[103:104]
	v_fma_f64 v[105:106], v[20:21], s[26:27], -v[105:106]
	;; [unrolled: 1-line block ×5, first 2 shown]
	v_fma_f64 v[6:7], v[6:7], s[2:3], v[123:124]
	v_fma_f64 v[117:118], v[48:49], s[12:13], v[111:112]
	;; [unrolled: 1-line block ×4, first 2 shown]
	v_fma_f64 v[107:108], v[153:154], s[16:17], -v[167:168]
	v_add_f64 v[153:154], v[133:134], -v[141:142]
	v_add_f64 v[169:170], v[103:104], v[157:158]
	v_fma_f64 v[115:116], v[155:156], s[12:13], v[113:114]
	v_add_f64 v[4:5], v[4:5], v[157:158]
	v_add_f64 v[20:21], v[20:21], v[159:160]
	;; [unrolled: 1-line block ×5, first 2 shown]
	v_fma_f64 v[107:108], v[155:156], s[12:13], v[107:108]
	v_add_f64 v[111:112], v[4:5], v[115:116]
	v_add_f64 v[113:114], v[20:21], -v[117:118]
	v_add_f64 v[115:116], v[4:5], -v[115:116]
	v_add_f64 v[117:118], v[117:118], v[20:21]
	v_fma_f64 v[4:5], v[119:120], s[14:15], v[165:166]
	v_fma_f64 v[20:21], v[121:122], s[14:15], v[167:168]
	v_add_f64 v[105:106], v[109:110], v[171:172]
	v_add_f64 v[109:110], v[171:172], -v[109:110]
	v_add_f64 v[103:104], v[169:170], -v[107:108]
	v_add_f64 v[107:108], v[169:170], v[107:108]
	v_fma_f64 v[4:5], v[48:49], s[12:13], v[4:5]
	v_fma_f64 v[20:21], v[155:156], s[12:13], v[20:21]
	v_add_f64 v[48:49], v[147:148], v[131:132]
	s_delay_alu instid0(VALU_DEP_3) | instskip(NEXT) | instid1(VALU_DEP_3)
	v_add_f64 v[121:122], v[22:23], -v[4:5]
	v_add_f64 v[119:120], v[6:7], v[20:21]
	v_add_f64 v[123:124], v[6:7], -v[20:21]
	v_add_f64 v[125:126], v[4:5], v[22:23]
	v_add_f64 v[4:5], v[127:128], -v[135:136]
	v_add_f64 v[20:21], v[143:144], -v[127:128]
	;; [unrolled: 1-line block ×5, first 2 shown]
	v_add_f64 v[129:130], v[149:150], v[133:134]
	v_add_f64 v[135:136], v[135:136], -v[143:144]
	v_add_f64 v[48:49], v[48:49], v[139:140]
	v_add_f64 v[137:138], v[137:138], -v[145:146]
	v_add_f64 v[139:140], v[139:140], -v[147:148]
	v_mul_f64 v[145:146], v[153:154], s[16:17]
	v_add_f64 v[131:132], v[149:150], -v[133:134]
	v_mul_f64 v[143:144], v[151:152], s[16:17]
	v_mul_f64 v[157:158], v[127:128], s[28:29]
	v_add_f64 v[155:156], v[129:130], v[141:142]
	v_mul_f64 v[127:128], v[20:21], s[2:3]
	v_add_f64 v[141:142], v[141:142], -v[149:150]
	v_mul_f64 v[147:148], v[135:136], s[18:19]
	v_mul_f64 v[149:150], v[137:138], s[18:19]
	v_mul_f64 v[129:130], v[22:23], s[2:3]
	v_mul_f64 v[159:160], v[131:132], s[28:29]
	v_fma_f64 v[135:136], v[139:140], s[22:23], -v[143:144]
	v_fma_f64 v[131:132], v[151:152], s[16:17], -v[157:158]
	;; [unrolled: 1-line block ×5, first 2 shown]
	v_fma_f64 v[20:21], v[20:21], s[2:3], v[147:148]
	v_fma_f64 v[129:130], v[6:7], s[26:27], -v[129:130]
	v_fma_f64 v[6:7], v[6:7], s[20:21], -v[149:150]
	v_fma_f64 v[143:144], v[48:49], s[12:13], v[135:136]
	v_fma_f64 v[22:23], v[22:23], s[2:3], v[149:150]
	s_load_b64 s[2:3], s[0:1], 0x38
	v_fma_f64 v[133:134], v[48:49], s[12:13], v[131:132]
	v_fma_f64 v[131:132], v[153:154], s[16:17], -v[159:160]
	v_add_f64 v[165:166], v[127:128], v[161:162]
	v_fma_f64 v[145:146], v[155:156], s[12:13], v[137:138]
	v_add_f64 v[4:5], v[4:5], v[161:162]
	v_add_f64 v[20:21], v[20:21], v[161:162]
	;; [unrolled: 1-line block ×5, first 2 shown]
	v_fma_f64 v[131:132], v[155:156], s[12:13], v[131:132]
	v_add_f64 v[135:136], v[4:5], v[145:146]
	v_add_f64 v[180:181], v[4:5], -v[145:146]
	v_mul_lo_u16 v4, v50, 7
	v_add_f64 v[182:183], v[143:144], v[6:7]
	v_add_f64 v[137:138], v[6:7], -v[143:144]
	v_add_f64 v[129:130], v[133:134], v[167:168]
	v_add_f64 v[133:134], v[167:168], -v[133:134]
	v_and_b32_e32 v4, 0xffff, v4
	s_delay_alu instid0(VALU_DEP_1)
	v_lshlrev_b32_e32 v4, 4, v4
	ds_store_b128 v4, v[44:47]
	v_fma_f64 v[44:45], v[139:140], s[14:15], v[157:158]
	v_fma_f64 v[46:47], v[141:142], s[14:15], v[159:160]
	ds_store_b128 v4, v[55:58] offset:16
	ds_store_b128 v4, v[16:19] offset:32
	;; [unrolled: 1-line block ×5, first 2 shown]
	scratch_store_b32 off, v4, off offset:1440 ; 4-byte Folded Spill
	ds_store_b128 v4, v[59:62] offset:96
                                        ; implicit-def: $vgpr32_vgpr33
                                        ; implicit-def: $vgpr56_vgpr57
                                        ; implicit-def: $vgpr24_vgpr25
                                        ; implicit-def: $vgpr28_vgpr29
	v_add_f64 v[127:128], v[165:166], -v[131:132]
	v_add_f64 v[131:132], v[165:166], v[131:132]
	v_fma_f64 v[48:49], v[48:49], s[12:13], v[44:45]
	v_fma_f64 v[139:140], v[155:156], s[12:13], v[46:47]
	v_add_co_u32 v178, s12, v185, 55
	v_add_co_u32 v179, s13, 0x6e, v185
	s_delay_alu instid0(VALU_DEP_2) | instskip(NEXT) | instid1(VALU_DEP_1)
	v_mul_u32_u24_e32 v4, 7, v178
	v_lshlrev_b32_e32 v4, 4, v4
	ds_store_b128 v4, v[51:54]
	ds_store_b128 v4, v[71:74] offset:16
	ds_store_b128 v4, v[36:39] offset:32
	;; [unrolled: 1-line block ×5, first 2 shown]
	scratch_store_b32 off, v4, off offset:1352 ; 4-byte Folded Spill
	ds_store_b128 v4, v[75:78] offset:96
	v_mul_u32_u24_e32 v4, 7, v179
                                        ; implicit-def: $vgpr40_vgpr41
                                        ; implicit-def: $vgpr52_vgpr53
                                        ; implicit-def: $vgpr36_vgpr37
	s_delay_alu instid0(VALU_DEP_1)
	v_lshlrev_b32_e32 v4, 4, v4
	ds_store_b128 v4, v[12:15]
	ds_store_b128 v4, v[95:98] offset:16
	ds_store_b128 v4, v[87:90] offset:32
	;; [unrolled: 1-line block ×5, first 2 shown]
	scratch_store_b32 off, v4, off offset:1276 ; 4-byte Folded Spill
	ds_store_b128 v4, v[99:102] offset:96
	v_mul_u32_u24_e32 v4, 7, v196
	v_add_f64 v[46:47], v[22:23], -v[48:49]
	v_add_f64 v[44:45], v[20:21], v[139:140]
	v_add_f64 v[20:21], v[20:21], -v[139:140]
	v_add_f64 v[22:23], v[48:49], v[22:23]
	v_lshlrev_b32_e32 v4, 4, v4
	ds_store_b128 v4, v[0:3]
	ds_store_b128 v4, v[119:122] offset:16
	ds_store_b128 v4, v[111:114] offset:32
	;; [unrolled: 1-line block ×5, first 2 shown]
	v_add_co_u32 v0, s14, 0xdc, v185
	scratch_store_b32 off, v4, off offset:1256 ; 4-byte Folded Spill
	ds_store_b128 v4, v[123:126] offset:96
	s_clause 0x1
	scratch_store_b32 off, v185, off
	scratch_store_b32 off, v0, off offset:1956
	v_mul_u32_u24_e32 v0, 7, v0
                                        ; implicit-def: $vgpr48_vgpr49
	s_delay_alu instid0(VALU_DEP_1)
	v_lshlrev_b32_e32 v1, 4, v0
	v_add_co_ci_u32_e64 v0, null, 0, 0, s13
	v_add_co_ci_u32_e64 v0, null, 0, 0, s14
	;; [unrolled: 1-line block ×3, first 2 shown]
	ds_store_b128 v1, v[8:11]
	ds_store_b128 v1, v[44:47] offset:16
	ds_store_b128 v1, v[135:138] offset:32
	;; [unrolled: 1-line block ×5, first 2 shown]
	scratch_store_b32 off, v1, off offset:1180 ; 4-byte Folded Spill
	ds_store_b128 v1, v[20:23] offset:96
	s_waitcnt lgkmcnt(0)
	s_waitcnt_vscnt null, 0x0
	s_barrier
	buffer_gl0_inv
	scratch_store_b32 off, v0, off offset:788 ; 4-byte Folded Spill
	ds_load_b128 v[16:19], v226
	ds_load_b128 v[12:15], v226 offset:880
	ds_load_b128 v[164:167], v226 offset:5600
	;; [unrolled: 1-line block ×32, first 2 shown]
                                        ; implicit-def: $vgpr44_vgpr45
	s_and_saveexec_b32 s0, vcc_lo
	s_cbranch_execz .LBB0_3
; %bb.2:
	ds_load_b128 v[180:183], v226 offset:2640
	ds_load_b128 v[20:23], v226 offset:5440
	;; [unrolled: 1-line block ×11, first 2 shown]
.LBB0_3:
	s_or_b32 exec_lo, exec_lo, s0
	scratch_load_b32 v6, off, off           ; 4-byte Folded Reload
	s_mov_b32 s22, 0xf8bb580b
	s_mov_b32 s28, 0x8eee2c13
	;; [unrolled: 1-line block ×28, first 2 shown]
	scratch_store_b32 off, v179, off offset:1620 ; 4-byte Folded Spill
	s_waitcnt vmcnt(0)
	v_and_b32_e32 v4, 0xff, v6
	s_delay_alu instid0(VALU_DEP_1) | instskip(NEXT) | instid1(VALU_DEP_1)
	v_mul_lo_u16 v4, v4, 37
	v_lshrrev_b16 v4, 8, v4
	s_delay_alu instid0(VALU_DEP_1) | instskip(NEXT) | instid1(VALU_DEP_1)
	v_sub_nc_u16 v5, v6, v4
	v_lshrrev_b16 v5, 1, v5
	s_delay_alu instid0(VALU_DEP_1) | instskip(NEXT) | instid1(VALU_DEP_1)
	v_and_b32_e32 v5, 0x7f, v5
	v_add_nc_u16 v4, v5, v4
	s_delay_alu instid0(VALU_DEP_1) | instskip(SKIP_2) | instid1(VALU_DEP_1)
	v_lshrrev_b16 v4, 2, v4
	scratch_store_b32 off, v4, off offset:784 ; 4-byte Folded Spill
	v_mul_lo_u16 v4, v4, 7
	v_sub_nc_u16 v4, v6, v4
	s_delay_alu instid0(VALU_DEP_1) | instskip(NEXT) | instid1(VALU_DEP_1)
	v_and_b32_e32 v227, 0xff, v4
	v_mul_u32_u24_e32 v4, 10, v227
	s_delay_alu instid0(VALU_DEP_1)
	v_lshlrev_b32_e32 v4, 4, v4
	global_load_b128 v[184:187], v4, s[10:11]
	s_waitcnt vmcnt(0) lgkmcnt(20)
	v_mul_f64 v[176:177], v[174:175], v[186:187]
	scratch_store_b128 off, v[184:187], off offset:1260 ; 16-byte Folded Spill
	v_fma_f64 v[176:177], v[172:173], v[184:185], -v[176:177]
	v_mul_f64 v[172:173], v[172:173], v[186:187]
	s_delay_alu instid0(VALU_DEP_1)
	v_fma_f64 v[174:175], v[174:175], v[184:185], v[172:173]
	global_load_b128 v[184:187], v4, s[10:11] offset:16
	s_waitcnt vmcnt(0)
	v_mul_f64 v[172:173], v[166:167], v[186:187]
	scratch_store_b128 off, v[184:187], off offset:1732 ; 16-byte Folded Spill
	v_fma_f64 v[6:7], v[164:165], v[184:185], -v[172:173]
	v_mul_f64 v[164:165], v[164:165], v[186:187]
	global_load_b128 v[186:189], v4, s[10:11] offset:32
	v_fma_f64 v[204:205], v[166:167], v[184:185], v[164:165]
	s_waitcnt vmcnt(0) lgkmcnt(16)
	v_mul_f64 v[164:165], v[170:171], v[188:189]
	s_delay_alu instid0(VALU_DEP_1)
	v_fma_f64 v[184:185], v[168:169], v[186:187], -v[164:165]
	v_mul_f64 v[164:165], v[168:169], v[188:189]
	global_load_b128 v[166:169], v4, s[10:11] offset:48
	scratch_store_b128 off, v[186:189], off offset:1716 ; 16-byte Folded Spill
	v_fma_f64 v[186:187], v[170:171], v[186:187], v[164:165]
	s_waitcnt vmcnt(0)
	scratch_store_b128 off, v[166:169], off offset:1700 ; 16-byte Folded Spill
	v_mul_f64 v[164:165], v[158:159], v[168:169]
	s_delay_alu instid0(VALU_DEP_1) | instskip(SKIP_1) | instid1(VALU_DEP_1)
	v_fma_f64 v[188:189], v[156:157], v[166:167], -v[164:165]
	v_mul_f64 v[156:157], v[156:157], v[168:169]
	v_fma_f64 v[190:191], v[158:159], v[166:167], v[156:157]
	global_load_b128 v[164:167], v4, s[10:11] offset:64
	s_waitcnt vmcnt(0) lgkmcnt(12)
	v_mul_f64 v[156:157], v[162:163], v[166:167]
	s_delay_alu instid0(VALU_DEP_1)
	v_fma_f64 v[192:193], v[160:161], v[164:165], -v[156:157]
	v_mul_f64 v[156:157], v[160:161], v[166:167]
	global_load_b128 v[158:161], v4, s[10:11] offset:80
	v_fma_f64 v[194:195], v[162:163], v[164:165], v[156:157]
	s_waitcnt vmcnt(0)
	v_mul_f64 v[156:157], v[146:147], v[160:161]
	scratch_store_b128 off, v[158:161], off offset:1604 ; 16-byte Folded Spill
	v_fma_f64 v[240:241], v[144:145], v[158:159], -v[156:157]
	v_mul_f64 v[144:145], v[144:145], v[160:161]
	s_delay_alu instid0(VALU_DEP_2) | instskip(NEXT) | instid1(VALU_DEP_2)
	v_add_f64 v[224:225], v[192:193], v[240:241]
	v_fma_f64 v[144:145], v[146:147], v[158:159], v[144:145]
	global_load_b128 v[156:159], v4, s[10:11] offset:96
	v_add_f64 v[238:239], v[194:195], -v[144:145]
	s_delay_alu instid0(VALU_DEP_1)
	v_mul_f64 v[206:207], v[238:239], s[26:27]
	s_waitcnt vmcnt(0) lgkmcnt(8)
	v_mul_f64 v[146:147], v[154:155], v[158:159]
	scratch_store_b128 off, v[156:159], off offset:1892 ; 16-byte Folded Spill
	v_fma_f64 v[146:147], v[152:153], v[156:157], -v[146:147]
	v_mul_f64 v[152:153], v[152:153], v[158:159]
	s_delay_alu instid0(VALU_DEP_2) | instskip(NEXT) | instid1(VALU_DEP_2)
	v_add_f64 v[230:231], v[188:189], v[146:147]
	v_fma_f64 v[242:243], v[154:155], v[156:157], v[152:153]
	global_load_b128 v[154:157], v4, s[10:11] offset:112
	v_add_f64 v[232:233], v[188:189], -v[146:147]
	v_add_f64 v[234:235], v[190:191], v[242:243]
	s_delay_alu instid0(VALU_DEP_2)
	v_mul_f64 v[236:237], v[232:233], s[24:25]
	s_waitcnt vmcnt(0)
	v_mul_f64 v[152:153], v[142:143], v[156:157]
	scratch_store_b128 off, v[154:157], off offset:1876 ; 16-byte Folded Spill
	v_fma_f64 v[244:245], v[140:141], v[154:155], -v[152:153]
	v_mul_f64 v[140:141], v[140:141], v[156:157]
	s_delay_alu instid0(VALU_DEP_1)
	v_fma_f64 v[246:247], v[142:143], v[154:155], v[140:141]
	global_load_b128 v[152:155], v4, s[10:11] offset:128
	s_waitcnt vmcnt(0) lgkmcnt(4)
	v_mul_f64 v[140:141], v[150:151], v[154:155]
	scratch_store_b128 off, v[152:155], off offset:1844 ; 16-byte Folded Spill
	v_fma_f64 v[248:249], v[148:149], v[152:153], -v[140:141]
	v_mul_f64 v[140:141], v[148:149], v[154:155]
	s_delay_alu instid0(VALU_DEP_1) | instskip(SKIP_2) | instid1(VALU_DEP_1)
	v_fma_f64 v[148:149], v[150:151], v[152:153], v[140:141]
	global_load_b128 v[152:155], v4, s[10:11] offset:144
	v_and_b32_e32 v4, 0xff, v178
	v_mul_lo_u16 v4, v4, 37
	s_delay_alu instid0(VALU_DEP_1) | instskip(NEXT) | instid1(VALU_DEP_1)
	v_lshrrev_b16 v4, 8, v4
	v_sub_nc_u16 v5, v178, v4
	s_delay_alu instid0(VALU_DEP_1) | instskip(NEXT) | instid1(VALU_DEP_1)
	v_lshrrev_b16 v5, 1, v5
	v_and_b32_e32 v5, 0x7f, v5
	s_delay_alu instid0(VALU_DEP_1) | instskip(NEXT) | instid1(VALU_DEP_1)
	v_add_nc_u16 v4, v5, v4
	v_lshrrev_b16 v4, 2, v4
	scratch_store_b32 off, v4, off offset:820 ; 4-byte Folded Spill
	v_mul_lo_u16 v4, v4, 7
	s_delay_alu instid0(VALU_DEP_1) | instskip(NEXT) | instid1(VALU_DEP_1)
	v_sub_nc_u16 v4, v178, v4
	v_and_b32_e32 v4, 0xff, v4
	s_clause 0x1
	scratch_store_b128 off, v[164:167], off offset:1636
	scratch_store_b32 off, v4, off offset:836
	v_mul_u32_u24_e32 v4, 10, v4
	s_delay_alu instid0(VALU_DEP_1) | instskip(SKIP_2) | instid1(VALU_DEP_1)
	v_lshlrev_b32_e32 v4, 4, v4
	s_waitcnt vmcnt(0)
	v_mul_f64 v[140:141], v[138:139], v[154:155]
	v_fma_f64 v[150:151], v[136:137], v[152:153], -v[140:141]
	global_load_b128 v[140:143], v4, s[10:11]
	v_mul_f64 v[136:137], v[136:137], v[154:155]
	s_delay_alu instid0(VALU_DEP_1)
	v_fma_f64 v[136:137], v[138:139], v[152:153], v[136:137]
	s_waitcnt vmcnt(0)
	v_mul_f64 v[138:139], v[134:135], v[142:143]
	scratch_store_b128 off, v[140:143], off offset:1860 ; 16-byte Folded Spill
	v_fma_f64 v[168:169], v[132:133], v[140:141], -v[138:139]
	v_mul_f64 v[132:133], v[132:133], v[142:143]
	s_delay_alu instid0(VALU_DEP_1)
	v_fma_f64 v[170:171], v[134:135], v[140:141], v[132:133]
	global_load_b128 v[138:141], v4, s[10:11] offset:16
	s_waitcnt vmcnt(0)
	v_mul_f64 v[132:133], v[90:91], v[140:141]
	scratch_store_b128 off, v[138:141], off offset:1828 ; 16-byte Folded Spill
	v_fma_f64 v[132:133], v[88:89], v[138:139], -v[132:133]
	v_mul_f64 v[88:89], v[88:89], v[140:141]
	global_load_b128 v[140:143], v4, s[10:11] offset:32
	v_fma_f64 v[134:135], v[90:91], v[138:139], v[88:89]
	s_waitcnt vmcnt(0)
	v_mul_f64 v[88:89], v[130:131], v[142:143]
	scratch_store_b128 off, v[140:143], off offset:1812 ; 16-byte Folded Spill
	v_fma_f64 v[138:139], v[128:129], v[140:141], -v[88:89]
	v_mul_f64 v[88:89], v[128:129], v[142:143]
	s_delay_alu instid0(VALU_DEP_1)
	v_fma_f64 v[250:251], v[130:131], v[140:141], v[88:89]
	global_load_b128 v[140:143], v4, s[10:11] offset:48
	scratch_store_b32 off, v178, off offset:1524 ; 4-byte Folded Spill
	s_waitcnt vmcnt(0)
	scratch_store_b128 off, v[140:143], off offset:1588 ; 16-byte Folded Spill
	v_mul_f64 v[88:89], v[2:3], v[142:143]
	s_delay_alu instid0(VALU_DEP_1) | instskip(SKIP_2) | instid1(VALU_DEP_1)
	v_fma_f64 v[128:129], v[0:1], v[140:141], -v[88:89]
	global_load_b128 v[88:91], v4, s[10:11] offset:64
	v_mul_f64 v[0:1], v[0:1], v[142:143]
	v_fma_f64 v[130:131], v[2:3], v[140:141], v[0:1]
	s_waitcnt vmcnt(0)
	v_mul_f64 v[0:1], v[126:127], v[90:91]
	scratch_store_b128 off, v[88:91], off offset:1780 ; 16-byte Folded Spill
	v_fma_f64 v[140:141], v[124:125], v[88:89], -v[0:1]
	v_mul_f64 v[0:1], v[124:125], v[90:91]
	s_delay_alu instid0(VALU_DEP_1)
	v_fma_f64 v[126:127], v[126:127], v[88:89], v[0:1]
	global_load_b128 v[88:91], v4, s[10:11] offset:80
	s_waitcnt vmcnt(0)
	v_mul_f64 v[0:1], v[94:95], v[90:91]
	scratch_store_b128 off, v[88:91], off offset:1748 ; 16-byte Folded Spill
	v_fma_f64 v[124:125], v[92:93], v[88:89], -v[0:1]
	v_mul_f64 v[0:1], v[92:93], v[90:91]
	s_delay_alu instid0(VALU_DEP_1)
	v_fma_f64 v[142:143], v[94:95], v[88:89], v[0:1]
	global_load_b128 v[88:91], v4, s[10:11] offset:96
	scratch_store_b128 off, v[152:155], off offset:1796 ; 16-byte Folded Spill
	s_waitcnt vmcnt(0)
	scratch_store_b128 off, v[88:91], off offset:1280 ; 16-byte Folded Spill
	v_mul_f64 v[0:1], v[98:99], v[90:91]
	s_delay_alu instid0(VALU_DEP_1) | instskip(SKIP_1) | instid1(VALU_DEP_1)
	v_fma_f64 v[152:153], v[96:97], v[88:89], -v[0:1]
	v_mul_f64 v[0:1], v[96:97], v[90:91]
	v_fma_f64 v[154:155], v[98:99], v[88:89], v[0:1]
	global_load_b128 v[88:91], v4, s[10:11] offset:112
	s_waitcnt vmcnt(0)
	v_mul_f64 v[0:1], v[102:103], v[90:91]
	scratch_store_b128 off, v[88:91], off offset:1296 ; 16-byte Folded Spill
	v_fma_f64 v[156:157], v[100:101], v[88:89], -v[0:1]
	v_mul_f64 v[0:1], v[100:101], v[90:91]
	s_delay_alu instid0(VALU_DEP_1)
	v_fma_f64 v[158:159], v[102:103], v[88:89], v[0:1]
	s_clause 0x1
	global_load_b128 v[88:91], v4, s[10:11] offset:128
	global_load_b128 v[2:5], v4, s[10:11] offset:144
	s_waitcnt vmcnt(1) lgkmcnt(2)
	v_mul_f64 v[0:1], v[106:107], v[90:91]
	s_delay_alu instid0(VALU_DEP_1) | instskip(SKIP_1) | instid1(VALU_DEP_1)
	v_fma_f64 v[160:161], v[104:105], v[88:89], -v[0:1]
	v_mul_f64 v[0:1], v[104:105], v[90:91]
	v_fma_f64 v[162:163], v[106:107], v[88:89], v[0:1]
	s_waitcnt vmcnt(0)
	v_mul_f64 v[0:1], v[110:111], v[4:5]
	s_delay_alu instid0(VALU_DEP_1) | instskip(SKIP_1) | instid1(VALU_DEP_1)
	v_fma_f64 v[164:165], v[108:109], v[2:3], -v[0:1]
	v_mul_f64 v[0:1], v[108:109], v[4:5]
	v_fma_f64 v[166:167], v[110:111], v[2:3], v[0:1]
	v_and_b32_e32 v0, 0xff, v179
	s_clause 0x1
	scratch_store_b128 off, v[88:91], off offset:1316
	scratch_store_b32 off, v0, off offset:804
	v_mul_lo_u16 v0, v0, 37
	s_delay_alu instid0(VALU_DEP_1) | instskip(NEXT) | instid1(VALU_DEP_1)
	v_lshrrev_b16 v0, 8, v0
	v_sub_nc_u16 v1, v179, v0
	s_delay_alu instid0(VALU_DEP_1) | instskip(NEXT) | instid1(VALU_DEP_1)
	v_lshrrev_b16 v1, 1, v1
	v_and_b32_e32 v1, 0x7f, v1
	s_delay_alu instid0(VALU_DEP_1) | instskip(NEXT) | instid1(VALU_DEP_1)
	v_add_nc_u16 v0, v1, v0
	v_lshrrev_b16 v0, 2, v0
	s_clause 0x1
	scratch_store_b128 off, v[2:5], off offset:1332
	scratch_store_b32 off, v0, off offset:852
	v_mul_lo_u16 v0, v0, 7
	s_delay_alu instid0(VALU_DEP_1) | instskip(NEXT) | instid1(VALU_DEP_1)
	v_sub_nc_u16 v0, v179, v0
	v_and_b32_e32 v0, 0xff, v0
	scratch_store_b32 off, v0, off offset:868 ; 4-byte Folded Spill
	v_mul_u32_u24_e32 v0, 10, v0
	s_delay_alu instid0(VALU_DEP_1)
	v_lshlrev_b32_e32 v2, 4, v0
	global_load_b128 v[88:91], v2, s[10:11]
	s_waitcnt vmcnt(0)
	v_mul_f64 v[0:1], v[114:115], v[90:91]
	scratch_store_b128 off, v[88:91], off offset:1356 ; 16-byte Folded Spill
	v_fma_f64 v[252:253], v[112:113], v[88:89], -v[0:1]
	v_mul_f64 v[0:1], v[112:113], v[90:91]
	s_delay_alu instid0(VALU_DEP_1)
	v_fma_f64 v[254:255], v[114:115], v[88:89], v[0:1]
	global_load_b128 v[88:91], v2, s[10:11] offset:16
	s_waitcnt vmcnt(0)
	v_mul_f64 v[0:1], v[118:119], v[90:91]
	scratch_store_b128 off, v[88:91], off offset:1372 ; 16-byte Folded Spill
	v_fma_f64 v[108:109], v[116:117], v[88:89], -v[0:1]
	v_mul_f64 v[0:1], v[116:117], v[90:91]
	s_delay_alu instid0(VALU_DEP_1)
	v_fma_f64 v[110:111], v[118:119], v[88:89], v[0:1]
	global_load_b128 v[88:91], v2, s[10:11] offset:32
	;; [unrolled: 8-line block ×3, first 2 shown]
	s_waitcnt vmcnt(0)
	v_mul_f64 v[0:1], v[86:87], v[90:91]
	scratch_store_b128 off, v[88:91], off offset:1404 ; 16-byte Folded Spill
	v_fma_f64 v[96:97], v[84:85], v[88:89], -v[0:1]
	v_mul_f64 v[0:1], v[84:85], v[90:91]
	s_delay_alu instid0(VALU_DEP_1) | instskip(SKIP_3) | instid1(VALU_DEP_1)
	v_fma_f64 v[98:99], v[86:87], v[88:89], v[0:1]
	global_load_b128 v[84:87], v2, s[10:11] offset:64
	s_waitcnt vmcnt(0)
	v_mul_f64 v[0:1], v[82:83], v[86:87]
	v_fma_f64 v[88:89], v[80:81], v[84:85], -v[0:1]
	v_mul_f64 v[0:1], v[80:81], v[86:87]
	s_delay_alu instid0(VALU_DEP_1) | instskip(SKIP_3) | instid1(VALU_DEP_1)
	v_fma_f64 v[90:91], v[82:83], v[84:85], v[0:1]
	global_load_b128 v[80:83], v2, s[10:11] offset:80
	s_waitcnt vmcnt(0)
	v_mul_f64 v[0:1], v[78:79], v[82:83]
	v_fma_f64 v[92:93], v[76:77], v[80:81], -v[0:1]
	v_mul_f64 v[0:1], v[76:77], v[82:83]
	s_delay_alu instid0(VALU_DEP_1) | instskip(SKIP_3) | instid1(VALU_DEP_1)
	v_fma_f64 v[94:95], v[78:79], v[80:81], v[0:1]
	global_load_b128 v[76:79], v2, s[10:11] offset:96
	s_waitcnt vmcnt(0)
	v_mul_f64 v[0:1], v[74:75], v[78:79]
	v_fma_f64 v[100:101], v[72:73], v[76:77], -v[0:1]
	v_mul_f64 v[0:1], v[72:73], v[78:79]
	s_delay_alu instid0(VALU_DEP_1) | instskip(SKIP_3) | instid1(VALU_DEP_1)
	v_fma_f64 v[104:105], v[74:75], v[76:77], v[0:1]
	global_load_b128 v[72:75], v2, s[10:11] offset:112
	s_waitcnt vmcnt(0)
	v_mul_f64 v[0:1], v[70:71], v[74:75]
	v_fma_f64 v[112:113], v[68:69], v[72:73], -v[0:1]
	v_mul_f64 v[0:1], v[68:69], v[74:75]
	s_delay_alu instid0(VALU_DEP_1)
	v_fma_f64 v[114:115], v[70:71], v[72:73], v[0:1]
	s_clause 0x1
	global_load_b128 v[68:71], v2, s[10:11] offset:128
	global_load_b128 v[2:5], v2, s[10:11] offset:144
	s_waitcnt vmcnt(1) lgkmcnt(1)
	v_mul_f64 v[0:1], v[66:67], v[70:71]
	s_delay_alu instid0(VALU_DEP_1) | instskip(SKIP_1) | instid1(VALU_DEP_1)
	v_fma_f64 v[116:117], v[64:65], v[68:69], -v[0:1]
	v_mul_f64 v[0:1], v[64:65], v[70:71]
	v_fma_f64 v[118:119], v[66:67], v[68:69], v[0:1]
	s_waitcnt vmcnt(0) lgkmcnt(0)
	v_mul_f64 v[0:1], v[62:63], v[4:5]
	s_delay_alu instid0(VALU_DEP_1) | instskip(SKIP_1) | instid1(VALU_DEP_1)
	v_fma_f64 v[120:121], v[60:61], v[2:3], -v[0:1]
	v_mul_f64 v[0:1], v[60:61], v[4:5]
	v_fma_f64 v[122:123], v[62:63], v[2:3], v[0:1]
	v_and_b32_e32 v0, 0xff, v196
	scratch_store_b32 off, v0, off offset:916 ; 4-byte Folded Spill
	v_mul_lo_u16 v0, v0, 37
	s_delay_alu instid0(VALU_DEP_1) | instskip(NEXT) | instid1(VALU_DEP_1)
	v_lshrrev_b16 v0, 8, v0
	v_sub_nc_u16 v1, v196, v0
	s_delay_alu instid0(VALU_DEP_1) | instskip(NEXT) | instid1(VALU_DEP_1)
	v_lshrrev_b16 v1, 1, v1
	v_and_b32_e32 v1, 0x7f, v1
	s_delay_alu instid0(VALU_DEP_1) | instskip(NEXT) | instid1(VALU_DEP_1)
	v_add_nc_u16 v0, v1, v0
	v_lshrrev_b16 v0, 2, v0
	scratch_store_b128 off, v[80:83], off offset:1492 ; 16-byte Folded Spill
	v_dual_mov_b32 v82, v204 :: v_dual_mov_b32 v83, v205
	v_add_f64 v[204:205], v[192:193], -v[240:241]
	scratch_store_b32 off, v0, off offset:884 ; 4-byte Folded Spill
	v_mul_lo_u16 v0, v0, 7
	s_delay_alu instid0(VALU_DEP_1) | instskip(NEXT) | instid1(VALU_DEP_1)
	v_sub_nc_u16 v0, v196, v0
	v_and_b32_e32 v0, 0xff, v0
	s_clause 0x1
	scratch_store_b128 off, v[2:5], off offset:1148
	scratch_store_b32 off, v0, off offset:780
	v_mul_u32_u24_e32 v0, 10, v0
	s_delay_alu instid0(VALU_DEP_1)
	v_lshlrev_b32_e32 v2, 4, v0
	global_load_b128 v[60:63], v2, s[10:11]
	s_waitcnt vmcnt(0)
	v_mul_f64 v[0:1], v[22:23], v[62:63]
	scratch_store_b128 off, v[60:63], off offset:2252 ; 16-byte Folded Spill
	v_fma_f64 v[0:1], v[20:21], v[60:61], -v[0:1]
	scratch_store_b64 off, v[0:1], off offset:980 ; 8-byte Folded Spill
	v_mul_f64 v[0:1], v[20:21], v[62:63]
	s_delay_alu instid0(VALU_DEP_1)
	v_fma_f64 v[0:1], v[22:23], v[60:61], v[0:1]
	global_load_b128 v[20:23], v2, s[10:11] offset:16
	scratch_store_b64 off, v[0:1], off offset:1100 ; 8-byte Folded Spill
	s_waitcnt vmcnt(0)
	v_mul_f64 v[0:1], v[34:35], v[22:23]
	scratch_store_b128 off, v[20:23], off offset:2220 ; 16-byte Folded Spill
	v_fma_f64 v[0:1], v[32:33], v[20:21], -v[0:1]
	scratch_store_b64 off, v[0:1], off offset:1084 ; 8-byte Folded Spill
	v_mul_f64 v[0:1], v[32:33], v[22:23]
	s_delay_alu instid0(VALU_DEP_1)
	v_fma_f64 v[0:1], v[34:35], v[20:21], v[0:1]
	global_load_b128 v[20:23], v2, s[10:11] offset:32
	scratch_store_b64 off, v[0:1], off offset:964 ; 8-byte Folded Spill
	s_waitcnt vmcnt(0)
	scratch_store_b128 off, v[20:23], off offset:2124 ; 16-byte Folded Spill
	v_mul_f64 v[0:1], v[46:47], v[22:23]
	s_delay_alu instid0(VALU_DEP_1) | instskip(SKIP_2) | instid1(VALU_DEP_1)
	v_fma_f64 v[0:1], v[44:45], v[20:21], -v[0:1]
	scratch_store_b64 off, v[0:1], off offset:1028 ; 8-byte Folded Spill
	v_mul_f64 v[0:1], v[44:45], v[22:23]
	v_fma_f64 v[0:1], v[46:47], v[20:21], v[0:1]
	global_load_b128 v[20:23], v2, s[10:11] offset:48
	v_add_f64 v[46:47], v[174:175], v[136:137]
	scratch_store_b64 off, v[0:1], off offset:1060 ; 8-byte Folded Spill
	s_waitcnt vmcnt(0)
	v_mul_f64 v[0:1], v[58:59], v[22:23]
	s_delay_alu instid0(VALU_DEP_1) | instskip(SKIP_2) | instid1(VALU_DEP_1)
	v_fma_f64 v[0:1], v[56:57], v[20:21], -v[0:1]
	scratch_store_b64 off, v[0:1], off offset:1116 ; 8-byte Folded Spill
	v_mul_f64 v[0:1], v[56:57], v[22:23]
	v_fma_f64 v[0:1], v[58:59], v[20:21], v[0:1]
	scratch_store_b128 off, v[20:23], off offset:2140 ; 16-byte Folded Spill
	global_load_b128 v[20:23], v2, s[10:11] offset:64
	scratch_store_b64 off, v[0:1], off offset:996 ; 8-byte Folded Spill
	s_waitcnt vmcnt(0)
	v_mul_f64 v[0:1], v[26:27], v[22:23]
	scratch_store_b128 off, v[20:23], off offset:2204 ; 16-byte Folded Spill
	v_fma_f64 v[0:1], v[24:25], v[20:21], -v[0:1]
	scratch_store_b64 off, v[0:1], off offset:900 ; 8-byte Folded Spill
	v_mul_f64 v[0:1], v[24:25], v[22:23]
	s_delay_alu instid0(VALU_DEP_1)
	v_fma_f64 v[0:1], v[26:27], v[20:21], v[0:1]
	global_load_b128 v[20:23], v2, s[10:11] offset:80
	v_add_f64 v[26:27], v[176:177], v[150:151]
	scratch_store_b64 off, v[0:1], off offset:932 ; 8-byte Folded Spill
	s_waitcnt vmcnt(0)
	scratch_store_b128 off, v[20:23], off offset:2188 ; 16-byte Folded Spill
	v_mul_f64 v[0:1], v[30:31], v[22:23]
	s_delay_alu instid0(VALU_DEP_1) | instskip(SKIP_2) | instid1(VALU_DEP_1)
	v_fma_f64 v[0:1], v[28:29], v[20:21], -v[0:1]
	scratch_store_b64 off, v[0:1], off offset:1132 ; 8-byte Folded Spill
	v_mul_f64 v[0:1], v[28:29], v[22:23]
	v_fma_f64 v[0:1], v[30:31], v[20:21], v[0:1]
	global_load_b128 v[20:23], v2, s[10:11] offset:96
	scratch_store_b64 off, v[0:1], off offset:1012 ; 8-byte Folded Spill
	s_waitcnt vmcnt(0)
	scratch_store_b128 off, v[20:23], off offset:2172 ; 16-byte Folded Spill
	v_mul_f64 v[0:1], v[42:43], v[22:23]
	s_delay_alu instid0(VALU_DEP_1) | instskip(SKIP_2) | instid1(VALU_DEP_1)
	v_fma_f64 v[0:1], v[40:41], v[20:21], -v[0:1]
	scratch_store_b64 off, v[0:1], off offset:1164 ; 8-byte Folded Spill
	v_mul_f64 v[0:1], v[40:41], v[22:23]
	v_fma_f64 v[0:1], v[42:43], v[20:21], v[0:1]
	global_load_b128 v[20:23], v2, s[10:11] offset:112
	scratch_store_b64 off, v[0:1], off offset:1184 ; 8-byte Folded Spill
	s_waitcnt vmcnt(0)
	scratch_store_b128 off, v[20:23], off offset:2156 ; 16-byte Folded Spill
	v_mul_f64 v[0:1], v[54:55], v[22:23]
	s_delay_alu instid0(VALU_DEP_1) | instskip(SKIP_2) | instid1(VALU_DEP_1)
	v_fma_f64 v[0:1], v[52:53], v[20:21], -v[0:1]
	scratch_store_b64 off, v[0:1], off offset:1200 ; 8-byte Folded Spill
	v_mul_f64 v[0:1], v[52:53], v[22:23]
	v_fma_f64 v[0:1], v[54:55], v[20:21], v[0:1]
	s_clause 0x1
	global_load_b128 v[20:23], v2, s[10:11] offset:128
	global_load_b128 v[2:5], v2, s[10:11] offset:144
	s_clause 0x1
	scratch_store_b32 off, v196, off offset:1764
	scratch_store_b64 off, v[0:1], off offset:1216
	s_waitcnt vmcnt(1)
	scratch_store_b128 off, v[20:23], off offset:2236 ; 16-byte Folded Spill
	v_mul_f64 v[0:1], v[38:39], v[22:23]
	s_waitcnt vmcnt(0)
	scratch_store_b128 off, v[2:5], off offset:2268 ; 16-byte Folded Spill
	v_fma_f64 v[0:1], v[36:37], v[20:21], -v[0:1]
	scratch_store_b128 off, v[84:87], off offset:1424 ; 16-byte Folded Spill
	v_add_f64 v[84:85], v[170:171], v[166:167]
	v_add_f64 v[86:87], v[14:15], v[170:171]
	scratch_store_b64 off, v[0:1], off offset:164 ; 8-byte Folded Spill
	v_mul_f64 v[0:1], v[36:37], v[22:23]
	s_delay_alu instid0(VALU_DEP_1) | instskip(SKIP_4) | instid1(VALU_DEP_1)
	v_fma_f64 v[0:1], v[38:39], v[20:21], v[0:1]
	s_clause 0x1
	scratch_store_b128 off, v[76:79], off offset:1444
	scratch_store_b64 off, v[0:1], off offset:196
	v_mul_f64 v[0:1], v[50:51], v[4:5]
	v_fma_f64 v[0:1], v[48:49], v[2:3], -v[0:1]
	s_clause 0x1
	scratch_store_b128 off, v[68:71], off offset:1068
	scratch_store_b64 off, v[0:1], off offset:148
	v_mul_f64 v[0:1], v[48:49], v[4:5]
	v_add_f64 v[4:5], v[16:17], v[176:177]
	s_delay_alu instid0(VALU_DEP_2)
	v_fma_f64 v[0:1], v[50:51], v[2:3], v[0:1]
	scratch_store_b64 off, v[4:5], off offset:4 ; 8-byte Folded Spill
	v_add_f64 v[4:5], v[18:19], v[174:175]
	s_clause 0x1
	scratch_store_b128 off, v[72:75], off offset:1044
	scratch_store_b64 off, v[0:1], off offset:180
	v_add_f64 v[0:1], v[174:175], -v[136:137]
	scratch_store_b64 off, v[4:5], off offset:20 ; 8-byte Folded Spill
	v_add_f64 v[4:5], v[194:195], v[144:145]
	v_mul_f64 v[2:3], v[0:1], s[22:23]
	v_mul_f64 v[20:21], v[0:1], s[28:29]
	;; [unrolled: 1-line block ×5, first 2 shown]
	v_fma_f64 v[28:29], v[26:27], s[0:1], -v[2:3]
	v_fma_f64 v[2:3], v[26:27], s[0:1], v[2:3]
	v_fma_f64 v[30:31], v[26:27], s[12:13], -v[20:21]
	v_fma_f64 v[20:21], v[26:27], s[12:13], v[20:21]
	;; [unrolled: 2-line block ×5, first 2 shown]
	v_add_f64 v[26:27], v[176:177], -v[150:151]
	v_add_f64 v[60:61], v[16:17], v[28:29]
	v_add_f64 v[2:3], v[16:17], v[2:3]
	v_add_f64 v[66:67], v[16:17], v[30:31]
	v_add_f64 v[20:21], v[16:17], v[20:21]
	v_add_f64 v[32:33], v[16:17], v[32:33]
	v_add_f64 v[30:31], v[16:17], v[22:23]
	v_mul_f64 v[36:37], v[26:27], s[22:23]
	v_mul_f64 v[38:39], v[26:27], s[28:29]
	;; [unrolled: 1-line block ×5, first 2 shown]
	v_fma_f64 v[48:49], v[46:47], s[0:1], v[36:37]
	v_fma_f64 v[36:37], v[46:47], s[0:1], -v[36:37]
	v_fma_f64 v[50:51], v[46:47], s[12:13], v[38:39]
	v_fma_f64 v[38:39], v[46:47], s[12:13], -v[38:39]
	;; [unrolled: 2-line block ×5, first 2 shown]
	v_add_f64 v[42:43], v[16:17], v[24:25]
	v_add_f64 v[46:47], v[16:17], v[44:45]
	;; [unrolled: 1-line block ×4, first 2 shown]
	v_add_f64 v[0:1], v[170:171], -v[166:167]
	v_add_f64 v[64:65], v[18:19], v[36:37]
	v_add_f64 v[72:73], v[18:19], v[50:51]
	v_add_f64 v[74:75], v[18:19], v[38:39]
	v_add_f64 v[52:53], v[18:19], v[52:53]
	v_add_f64 v[28:29], v[18:19], v[40:41]
	v_add_f64 v[38:39], v[16:17], v[34:35]
	v_add_f64 v[36:37], v[18:19], v[54:55]
	v_add_f64 v[40:41], v[18:19], v[56:57]
	v_add_f64 v[44:45], v[18:19], v[58:59]
	v_add_f64 v[50:51], v[18:19], v[26:27]
	v_add_f64 v[26:27], v[168:169], v[164:165]
	v_mul_f64 v[16:17], v[0:1], s[22:23]
	v_mul_f64 v[18:19], v[0:1], s[28:29]
	;; [unrolled: 1-line block ×5, first 2 shown]
	v_fma_f64 v[34:35], v[26:27], s[0:1], -v[16:17]
	v_fma_f64 v[16:17], v[26:27], s[0:1], v[16:17]
	v_fma_f64 v[54:55], v[26:27], s[12:13], -v[18:19]
	v_fma_f64 v[18:19], v[26:27], s[12:13], v[18:19]
	;; [unrolled: 2-line block ×5, first 2 shown]
	v_add_f64 v[26:27], v[168:169], -v[164:165]
	v_add_f64 v[202:203], v[12:13], v[34:35]
	v_add_f64 v[210:211], v[12:13], v[16:17]
	;; [unrolled: 1-line block ×6, first 2 shown]
	v_add_f64 v[56:57], v[6:7], -v[248:249]
	v_mul_f64 v[68:69], v[26:27], s[22:23]
	v_mul_f64 v[70:71], v[26:27], s[28:29]
	;; [unrolled: 1-line block ×5, first 2 shown]
	v_fma_f64 v[172:173], v[84:85], s[0:1], v[68:69]
	v_fma_f64 v[68:69], v[84:85], s[0:1], -v[68:69]
	v_fma_f64 v[176:177], v[84:85], s[12:13], v[70:71]
	v_fma_f64 v[70:71], v[84:85], s[12:13], -v[70:71]
	;; [unrolled: 2-line block ×5, first 2 shown]
	v_add_f64 v[84:85], v[12:13], v[168:169]
	v_add_f64 v[168:169], v[12:13], v[0:1]
	v_add_f64 v[0:1], v[82:83], -v[148:149]
	v_add_f64 v[78:79], v[12:13], v[58:59]
	v_add_f64 v[58:59], v[82:83], v[148:149]
	;; [unrolled: 1-line block ×14, first 2 shown]
	v_mul_f64 v[12:13], v[0:1], s[28:29]
	v_add_f64 v[170:171], v[14:15], v[26:27]
	v_mul_f64 v[22:23], v[56:57], s[28:29]
	v_add_f64 v[196:197], v[184:185], -v[244:245]
	v_add_f64 v[198:199], v[186:187], v[246:247]
	v_add_f64 v[200:201], v[190:191], -v[242:243]
	v_fma_f64 v[14:15], v[54:55], s[12:13], -v[12:13]
	v_fma_f64 v[12:13], v[54:55], s[12:13], v[12:13]
	v_fma_f64 v[16:17], v[58:59], s[12:13], v[22:23]
	v_mul_f64 v[26:27], v[196:197], s[20:21]
	v_mul_f64 v[34:35], v[200:201], s[24:25]
	v_add_f64 v[14:15], v[14:15], v[60:61]
	v_add_f64 v[60:61], v[186:187], -v[246:247]
	v_add_f64 v[16:17], v[16:17], v[62:63]
	v_add_f64 v[62:63], v[184:185], v[244:245]
	;; [unrolled: 1-line block ×3, first 2 shown]
	v_fma_f64 v[12:13], v[58:59], s[12:13], -v[22:23]
	v_mul_f64 v[24:25], v[60:61], s[20:21]
	s_delay_alu instid0(VALU_DEP_2) | instskip(SKIP_1) | instid1(VALU_DEP_3)
	v_add_f64 v[12:13], v[12:13], v[64:65]
	v_mul_f64 v[64:65], v[60:61], s[38:39]
	v_fma_f64 v[18:19], v[62:63], s[14:15], -v[24:25]
	v_fma_f64 v[22:23], v[62:63], s[14:15], v[24:25]
	s_delay_alu instid0(VALU_DEP_2) | instskip(SKIP_1) | instid1(VALU_DEP_3)
	v_add_f64 v[14:15], v[18:19], v[14:15]
	v_fma_f64 v[18:19], v[198:199], s[14:15], v[26:27]
	v_add_f64 v[2:3], v[22:23], v[2:3]
	v_fma_f64 v[22:23], v[198:199], s[14:15], -v[26:27]
	v_fma_f64 v[26:27], v[62:63], s[18:19], -v[64:65]
	s_delay_alu instid0(VALU_DEP_4) | instskip(SKIP_1) | instid1(VALU_DEP_4)
	v_add_f64 v[16:17], v[18:19], v[16:17]
	v_fma_f64 v[18:19], v[230:231], s[16:17], -v[34:35]
	v_add_f64 v[12:13], v[22:23], v[12:13]
	v_fma_f64 v[22:23], v[230:231], s[16:17], v[34:35]
	v_mul_f64 v[34:35], v[56:57], s[24:25]
	s_delay_alu instid0(VALU_DEP_4) | instskip(SKIP_1) | instid1(VALU_DEP_4)
	v_add_f64 v[14:15], v[18:19], v[14:15]
	v_fma_f64 v[18:19], v[234:235], s[16:17], v[236:237]
	v_add_f64 v[2:3], v[22:23], v[2:3]
	v_fma_f64 v[22:23], v[234:235], s[16:17], -v[236:237]
	v_fma_f64 v[24:25], v[58:59], s[16:17], v[34:35]
	s_delay_alu instid0(VALU_DEP_4) | instskip(SKIP_1) | instid1(VALU_DEP_4)
	v_add_f64 v[18:19], v[18:19], v[16:17]
	v_fma_f64 v[16:17], v[224:225], s[18:19], -v[206:207]
	v_add_f64 v[22:23], v[22:23], v[12:13]
	v_fma_f64 v[12:13], v[224:225], s[18:19], v[206:207]
	v_add_f64 v[24:25], v[24:25], v[72:73]
	v_mul_f64 v[72:73], v[200:201], s[36:37]
	v_mul_f64 v[206:207], v[238:239], s[30:31]
	v_add_f64 v[16:17], v[16:17], v[14:15]
	v_mul_f64 v[14:15], v[204:205], s[26:27]
	v_add_f64 v[12:13], v[12:13], v[2:3]
	v_mul_f64 v[2:3], v[0:1], s[24:25]
	s_delay_alu instid0(VALU_DEP_3) | instskip(SKIP_1) | instid1(VALU_DEP_2)
	v_fma_f64 v[80:81], v[4:5], s[18:19], v[14:15]
	v_fma_f64 v[14:15], v[4:5], s[18:19], -v[14:15]
	v_add_f64 v[18:19], v[80:81], v[18:19]
	s_delay_alu instid0(VALU_DEP_2)
	v_add_f64 v[14:15], v[14:15], v[22:23]
	v_fma_f64 v[22:23], v[54:55], s[16:17], -v[2:3]
	v_fma_f64 v[2:3], v[54:55], s[16:17], v[2:3]
	v_mul_f64 v[80:81], v[232:233], s[36:37]
	scratch_store_b128 off, v[12:15], off offset:948 ; 16-byte Folded Spill
	v_add_f64 v[22:23], v[22:23], v[66:67]
	v_mul_f64 v[66:67], v[196:197], s[38:39]
	v_add_f64 v[2:3], v[2:3], v[20:21]
	v_fma_f64 v[20:21], v[58:59], s[16:17], -v[34:35]
	v_fma_f64 v[34:35], v[62:63], s[18:19], v[64:65]
	v_mul_f64 v[64:65], v[56:57], s[38:39]
	v_add_f64 v[22:23], v[26:27], v[22:23]
	v_fma_f64 v[26:27], v[198:199], s[18:19], v[66:67]
	v_add_f64 v[20:21], v[20:21], v[74:75]
	v_add_f64 v[2:3], v[34:35], v[2:3]
	v_fma_f64 v[34:35], v[198:199], s[18:19], -v[66:67]
	s_delay_alu instid0(VALU_DEP_4) | instskip(SKIP_1) | instid1(VALU_DEP_3)
	v_add_f64 v[24:25], v[26:27], v[24:25]
	v_fma_f64 v[26:27], v[230:231], s[14:15], -v[72:73]
	v_add_f64 v[20:21], v[34:35], v[20:21]
	v_fma_f64 v[34:35], v[230:231], s[14:15], v[72:73]
	s_delay_alu instid0(VALU_DEP_3) | instskip(SKIP_1) | instid1(VALU_DEP_3)
	v_add_f64 v[22:23], v[26:27], v[22:23]
	v_fma_f64 v[26:27], v[234:235], s[14:15], v[80:81]
	v_add_f64 v[2:3], v[34:35], v[2:3]
	v_fma_f64 v[34:35], v[234:235], s[14:15], -v[80:81]
	s_delay_alu instid0(VALU_DEP_3) | instskip(SKIP_1) | instid1(VALU_DEP_3)
	v_add_f64 v[26:27], v[26:27], v[24:25]
	v_fma_f64 v[24:25], v[224:225], s[0:1], -v[206:207]
	v_add_f64 v[34:35], v[34:35], v[20:21]
	v_fma_f64 v[20:21], v[224:225], s[0:1], v[206:207]
	s_delay_alu instid0(VALU_DEP_3) | instskip(SKIP_1) | instid1(VALU_DEP_3)
	v_add_f64 v[24:25], v[24:25], v[22:23]
	v_mul_f64 v[22:23], v[204:205], s[30:31]
	v_add_f64 v[20:21], v[20:21], v[2:3]
	v_mul_f64 v[2:3], v[0:1], s[38:39]
	s_delay_alu instid0(VALU_DEP_3) | instskip(SKIP_1) | instid1(VALU_DEP_2)
	v_fma_f64 v[236:237], v[4:5], s[0:1], v[22:23]
	v_fma_f64 v[22:23], v[4:5], s[0:1], -v[22:23]
	v_add_f64 v[26:27], v[236:237], v[26:27]
	s_delay_alu instid0(VALU_DEP_2) | instskip(SKIP_2) | instid1(VALU_DEP_2)
	v_add_f64 v[22:23], v[22:23], v[34:35]
	v_fma_f64 v[34:35], v[54:55], s[18:19], -v[2:3]
	v_fma_f64 v[2:3], v[54:55], s[18:19], v[2:3]
	v_add_f64 v[32:33], v[34:35], v[32:33]
	v_fma_f64 v[34:35], v[58:59], s[18:19], v[64:65]
	s_delay_alu instid0(VALU_DEP_3) | instskip(SKIP_1) | instid1(VALU_DEP_3)
	v_add_f64 v[2:3], v[2:3], v[30:31]
	v_fma_f64 v[30:31], v[58:59], s[18:19], -v[64:65]
	v_add_f64 v[34:35], v[34:35], v[52:53]
	v_mul_f64 v[52:53], v[60:61], s[34:35]
	s_delay_alu instid0(VALU_DEP_3) | instskip(NEXT) | instid1(VALU_DEP_2)
	v_add_f64 v[28:29], v[30:31], v[28:29]
	v_fma_f64 v[66:67], v[62:63], s[12:13], -v[52:53]
	v_fma_f64 v[30:31], v[62:63], s[12:13], v[52:53]
	s_delay_alu instid0(VALU_DEP_2) | instskip(SKIP_1) | instid1(VALU_DEP_3)
	v_add_f64 v[32:33], v[66:67], v[32:33]
	v_mul_f64 v[66:67], v[196:197], s[34:35]
	v_add_f64 v[2:3], v[30:31], v[2:3]
	s_delay_alu instid0(VALU_DEP_2) | instskip(SKIP_1) | instid1(VALU_DEP_2)
	v_fma_f64 v[72:73], v[198:199], s[12:13], v[66:67]
	v_fma_f64 v[30:31], v[198:199], s[12:13], -v[66:67]
	v_add_f64 v[34:35], v[72:73], v[34:35]
	v_mul_f64 v[72:73], v[200:201], s[22:23]
	s_delay_alu instid0(VALU_DEP_3) | instskip(NEXT) | instid1(VALU_DEP_2)
	v_add_f64 v[28:29], v[30:31], v[28:29]
	v_fma_f64 v[74:75], v[230:231], s[0:1], -v[72:73]
	v_fma_f64 v[30:31], v[230:231], s[0:1], v[72:73]
	s_delay_alu instid0(VALU_DEP_2) | instskip(SKIP_1) | instid1(VALU_DEP_3)
	v_add_f64 v[32:33], v[74:75], v[32:33]
	v_mul_f64 v[74:75], v[232:233], s[22:23]
	v_add_f64 v[2:3], v[30:31], v[2:3]
	s_delay_alu instid0(VALU_DEP_2) | instskip(SKIP_1) | instid1(VALU_DEP_2)
	v_fma_f64 v[80:81], v[234:235], s[0:1], v[74:75]
	v_fma_f64 v[30:31], v[234:235], s[0:1], -v[74:75]
	v_add_f64 v[34:35], v[80:81], v[34:35]
	v_mul_f64 v[80:81], v[238:239], s[24:25]
	s_delay_alu instid0(VALU_DEP_3) | instskip(NEXT) | instid1(VALU_DEP_2)
	v_add_f64 v[30:31], v[30:31], v[28:29]
	v_fma_f64 v[206:207], v[224:225], s[16:17], -v[80:81]
	v_fma_f64 v[28:29], v[224:225], s[16:17], v[80:81]
	s_delay_alu instid0(VALU_DEP_2) | instskip(SKIP_1) | instid1(VALU_DEP_3)
	v_add_f64 v[32:33], v[206:207], v[32:33]
	v_mul_f64 v[206:207], v[204:205], s[24:25]
	v_add_f64 v[28:29], v[28:29], v[2:3]
	v_mul_f64 v[2:3], v[0:1], s[36:37]
	v_mul_f64 v[0:1], v[0:1], s[30:31]
	s_delay_alu instid0(VALU_DEP_4) | instskip(SKIP_2) | instid1(VALU_DEP_3)
	v_fma_f64 v[52:53], v[4:5], s[16:17], -v[206:207]
	v_fma_f64 v[236:237], v[4:5], s[16:17], v[206:207]
	v_mul_f64 v[206:207], v[238:239], s[34:35]
	v_add_f64 v[30:31], v[52:53], v[30:31]
	v_fma_f64 v[52:53], v[54:55], s[14:15], -v[2:3]
	v_fma_f64 v[2:3], v[54:55], s[14:15], v[2:3]
	v_add_f64 v[34:35], v[236:237], v[34:35]
	v_mul_f64 v[236:237], v[204:205], s[34:35]
	s_delay_alu instid0(VALU_DEP_4) | instskip(SKIP_2) | instid1(VALU_DEP_2)
	v_add_f64 v[38:39], v[52:53], v[38:39]
	v_mul_f64 v[52:53], v[56:57], s[36:37]
	v_add_f64 v[2:3], v[2:3], v[42:43]
	v_fma_f64 v[64:65], v[58:59], s[14:15], v[52:53]
	v_fma_f64 v[42:43], v[58:59], s[14:15], -v[52:53]
	v_fma_f64 v[52:53], v[4:5], s[12:13], -v[236:237]
	s_delay_alu instid0(VALU_DEP_3) | instskip(SKIP_1) | instid1(VALU_DEP_4)
	v_add_f64 v[36:37], v[64:65], v[36:37]
	v_mul_f64 v[64:65], v[60:61], s[22:23]
	v_add_f64 v[40:41], v[42:43], v[40:41]
	s_delay_alu instid0(VALU_DEP_2) | instskip(SKIP_2) | instid1(VALU_DEP_3)
	v_fma_f64 v[66:67], v[62:63], s[0:1], -v[64:65]
	v_fma_f64 v[42:43], v[62:63], s[0:1], v[64:65]
	v_mul_f64 v[64:65], v[200:201], s[34:35]
	v_add_f64 v[38:39], v[66:67], v[38:39]
	v_mul_f64 v[66:67], v[196:197], s[22:23]
	s_delay_alu instid0(VALU_DEP_4) | instskip(NEXT) | instid1(VALU_DEP_2)
	v_add_f64 v[2:3], v[42:43], v[2:3]
	v_fma_f64 v[72:73], v[198:199], s[0:1], v[66:67]
	v_fma_f64 v[42:43], v[198:199], s[0:1], -v[66:67]
	v_mul_f64 v[66:67], v[232:233], s[34:35]
	s_delay_alu instid0(VALU_DEP_3) | instskip(SKIP_1) | instid1(VALU_DEP_4)
	v_add_f64 v[36:37], v[72:73], v[36:37]
	v_mul_f64 v[72:73], v[200:201], s[26:27]
	v_add_f64 v[40:41], v[42:43], v[40:41]
	v_add_f64 v[200:201], v[250:251], -v[158:159]
	s_delay_alu instid0(VALU_DEP_3) | instskip(SKIP_3) | instid1(VALU_DEP_4)
	v_fma_f64 v[74:75], v[230:231], s[18:19], -v[72:73]
	v_fma_f64 v[42:43], v[230:231], s[18:19], v[72:73]
	v_mul_f64 v[72:73], v[238:239], s[20:21]
	v_add_f64 v[238:239], v[140:141], -v[124:125]
	v_add_f64 v[38:39], v[74:75], v[38:39]
	v_mul_f64 v[74:75], v[232:233], s[26:27]
	v_add_f64 v[2:3], v[42:43], v[2:3]
	v_add_f64 v[232:233], v[130:131], v[154:155]
	s_delay_alu instid0(VALU_DEP_3) | instskip(SKIP_3) | instid1(VALU_DEP_4)
	v_fma_f64 v[42:43], v[234:235], s[18:19], -v[74:75]
	v_fma_f64 v[80:81], v[234:235], s[18:19], v[74:75]
	v_mul_f64 v[74:75], v[204:205], s[20:21]
	v_add_f64 v[204:205], v[138:139], -v[156:157]
	v_add_f64 v[42:43], v[42:43], v[40:41]
	v_fma_f64 v[40:41], v[224:225], s[12:13], v[206:207]
	v_add_f64 v[80:81], v[80:81], v[36:37]
	v_fma_f64 v[36:37], v[224:225], s[12:13], -v[206:207]
	v_add_f64 v[206:207], v[250:251], v[158:159]
	v_add_f64 v[42:43], v[52:53], v[42:43]
	;; [unrolled: 1-line block ×3, first 2 shown]
	v_fma_f64 v[2:3], v[54:55], s[0:1], -v[0:1]
	v_mul_f64 v[52:53], v[56:57], s[30:31]
	v_mul_f64 v[56:57], v[60:61], s[24:25]
	;; [unrolled: 1-line block ×3, first 2 shown]
	v_fma_f64 v[0:1], v[54:55], s[0:1], v[0:1]
	v_add_f64 v[36:37], v[36:37], v[38:39]
	v_fma_f64 v[38:39], v[4:5], s[12:13], v[236:237]
	v_add_f64 v[196:197], v[132:133], -v[160:161]
	v_add_f64 v[236:237], v[140:141], v[124:125]
	v_add_f64 v[2:3], v[2:3], v[46:47]
	v_fma_f64 v[46:47], v[58:59], s[0:1], v[52:53]
	v_fma_f64 v[54:55], v[198:199], s[16:17], -v[60:61]
	v_add_f64 v[0:1], v[0:1], v[48:49]
	v_fma_f64 v[48:49], v[230:231], s[12:13], v[64:65]
	v_add_f64 v[38:39], v[38:39], v[80:81]
	v_add_f64 v[44:45], v[46:47], v[44:45]
	v_fma_f64 v[46:47], v[62:63], s[16:17], -v[56:57]
	s_delay_alu instid0(VALU_DEP_1) | instskip(SKIP_3) | instid1(VALU_DEP_3)
	v_add_f64 v[2:3], v[46:47], v[2:3]
	v_fma_f64 v[46:47], v[198:199], s[16:17], v[60:61]
	v_add_f64 v[198:199], v[134:135], v[162:163]
	v_mul_f64 v[60:61], v[200:201], s[20:21]
	v_add_f64 v[44:45], v[46:47], v[44:45]
	v_fma_f64 v[46:47], v[230:231], s[12:13], -v[64:65]
	v_add_f64 v[230:231], v[128:129], -v[152:153]
	s_delay_alu instid0(VALU_DEP_2) | instskip(SKIP_1) | instid1(VALU_DEP_1)
	v_add_f64 v[2:3], v[46:47], v[2:3]
	v_fma_f64 v[46:47], v[234:235], s[12:13], v[66:67]
	v_add_f64 v[46:47], v[46:47], v[44:45]
	v_fma_f64 v[44:45], v[224:225], s[14:15], -v[72:73]
	s_delay_alu instid0(VALU_DEP_1) | instskip(SKIP_3) | instid1(VALU_DEP_3)
	v_add_f64 v[44:45], v[44:45], v[2:3]
	v_fma_f64 v[2:3], v[4:5], s[14:15], v[74:75]
	v_fma_f64 v[4:5], v[4:5], s[14:15], -v[74:75]
	v_mul_f64 v[74:75], v[238:239], s[26:27]
	v_add_f64 v[46:47], v[2:3], v[46:47]
	v_fma_f64 v[2:3], v[58:59], s[0:1], -v[52:53]
	v_fma_f64 v[52:53], v[62:63], s[16:17], v[56:57]
	v_mul_f64 v[62:63], v[204:205], s[20:21]
	s_delay_alu instid0(VALU_DEP_3) | instskip(NEXT) | instid1(VALU_DEP_3)
	v_add_f64 v[2:3], v[2:3], v[50:51]
	v_add_f64 v[0:1], v[52:53], v[0:1]
	v_fma_f64 v[50:51], v[234:235], s[12:13], -v[66:67]
	v_fma_f64 v[52:53], v[224:225], s[14:15], v[72:73]
	v_add_f64 v[224:225], v[128:129], v[152:153]
	v_mul_f64 v[66:67], v[230:231], s[24:25]
	v_add_f64 v[234:235], v[126:127], -v[142:143]
	v_add_f64 v[2:3], v[54:55], v[2:3]
	v_add_f64 v[0:1], v[48:49], v[0:1]
	v_mul_f64 v[54:55], v[196:197], s[28:29]
	s_delay_alu instid0(VALU_DEP_4) | instskip(NEXT) | instid1(VALU_DEP_4)
	v_mul_f64 v[72:73], v[234:235], s[26:27]
	v_add_f64 v[2:3], v[50:51], v[2:3]
	s_delay_alu instid0(VALU_DEP_4)
	v_add_f64 v[48:49], v[52:53], v[0:1]
	v_add_f64 v[0:1], v[134:135], -v[162:163]
	v_fma_f64 v[56:57], v[198:199], s[12:13], v[54:55]
	v_fma_f64 v[54:55], v[198:199], s[12:13], -v[54:55]
	v_add_f64 v[50:51], v[4:5], v[2:3]
	v_add_f64 v[2:3], v[132:133], v[160:161]
	v_mul_f64 v[4:5], v[0:1], s[28:29]
	v_add_f64 v[56:57], v[56:57], v[208:209]
	v_add_f64 v[208:209], v[130:131], -v[154:155]
	v_add_f64 v[54:55], v[54:55], v[212:213]
	s_delay_alu instid0(VALU_DEP_4) | instskip(SKIP_1) | instid1(VALU_DEP_4)
	v_fma_f64 v[52:53], v[2:3], s[12:13], -v[4:5]
	v_fma_f64 v[4:5], v[2:3], s[12:13], v[4:5]
	v_mul_f64 v[64:65], v[208:209], s[24:25]
	s_delay_alu instid0(VALU_DEP_3) | instskip(SKIP_1) | instid1(VALU_DEP_4)
	v_add_f64 v[52:53], v[52:53], v[202:203]
	v_add_f64 v[202:203], v[138:139], v[156:157]
	;; [unrolled: 1-line block ×3, first 2 shown]
	s_delay_alu instid0(VALU_DEP_2) | instskip(SKIP_1) | instid1(VALU_DEP_2)
	v_fma_f64 v[58:59], v[202:203], s[14:15], -v[60:61]
	v_fma_f64 v[60:61], v[202:203], s[14:15], v[60:61]
	v_add_f64 v[52:53], v[58:59], v[52:53]
	v_fma_f64 v[58:59], v[206:207], s[14:15], v[62:63]
	s_delay_alu instid0(VALU_DEP_3) | instskip(SKIP_1) | instid1(VALU_DEP_3)
	v_add_f64 v[4:5], v[60:61], v[4:5]
	v_fma_f64 v[60:61], v[206:207], s[14:15], -v[62:63]
	v_add_f64 v[56:57], v[58:59], v[56:57]
	v_fma_f64 v[58:59], v[224:225], s[16:17], -v[64:65]
	s_delay_alu instid0(VALU_DEP_3) | instskip(SKIP_1) | instid1(VALU_DEP_3)
	v_add_f64 v[54:55], v[60:61], v[54:55]
	v_fma_f64 v[60:61], v[224:225], s[16:17], v[64:65]
	v_add_f64 v[52:53], v[58:59], v[52:53]
	v_fma_f64 v[58:59], v[232:233], s[16:17], v[66:67]
	s_delay_alu instid0(VALU_DEP_3) | instskip(SKIP_1) | instid1(VALU_DEP_3)
	v_add_f64 v[4:5], v[60:61], v[4:5]
	v_fma_f64 v[60:61], v[232:233], s[16:17], -v[66:67]
	v_add_f64 v[58:59], v[58:59], v[56:57]
	v_fma_f64 v[56:57], v[236:237], s[18:19], -v[72:73]
	s_delay_alu instid0(VALU_DEP_3) | instskip(SKIP_2) | instid1(VALU_DEP_4)
	v_add_f64 v[54:55], v[60:61], v[54:55]
	v_fma_f64 v[60:61], v[236:237], s[18:19], v[72:73]
	v_mul_f64 v[72:73], v[200:201], s[38:39]
	v_add_f64 v[56:57], v[56:57], v[52:53]
	v_add_f64 v[52:53], v[126:127], v[142:143]
	s_delay_alu instid0(VALU_DEP_4)
	v_add_f64 v[210:211], v[60:61], v[4:5]
	v_mul_f64 v[4:5], v[0:1], s[24:25]
	v_mul_f64 v[60:61], v[196:197], s[24:25]
	v_fma_f64 v[64:65], v[202:203], s[18:19], -v[72:73]
	v_fma_f64 v[62:63], v[52:53], s[18:19], -v[74:75]
	v_fma_f64 v[80:81], v[52:53], s[18:19], v[74:75]
	v_mul_f64 v[74:75], v[204:205], s[38:39]
	s_delay_alu instid0(VALU_DEP_3)
	v_add_f64 v[212:213], v[62:63], v[54:55]
	v_fma_f64 v[54:55], v[2:3], s[16:17], -v[4:5]
	v_fma_f64 v[62:63], v[198:199], s[16:17], v[60:61]
	v_add_f64 v[58:59], v[80:81], v[58:59]
	v_mul_f64 v[80:81], v[208:209], s[36:37]
	v_fma_f64 v[4:5], v[2:3], s[16:17], v[4:5]
	v_fma_f64 v[60:61], v[198:199], s[16:17], -v[60:61]
	v_add_f64 v[54:55], v[54:55], v[214:215]
	v_add_f64 v[62:63], v[62:63], v[220:221]
	v_mul_f64 v[214:215], v[230:231], s[36:37]
	v_mul_f64 v[220:221], v[234:235], s[30:31]
	v_add_f64 v[4:5], v[4:5], v[222:223]
	v_add_f64 v[60:61], v[60:61], v[216:217]
	v_mul_f64 v[216:217], v[204:205], s[34:35]
	v_mul_f64 v[222:223], v[234:235], s[24:25]
	v_add_f64 v[54:55], v[64:65], v[54:55]
	v_fma_f64 v[64:65], v[206:207], s[18:19], v[74:75]
	s_delay_alu instid0(VALU_DEP_1) | instskip(SKIP_1) | instid1(VALU_DEP_1)
	v_add_f64 v[62:63], v[64:65], v[62:63]
	v_fma_f64 v[64:65], v[224:225], s[14:15], -v[80:81]
	v_add_f64 v[54:55], v[64:65], v[54:55]
	v_fma_f64 v[64:65], v[232:233], s[14:15], v[214:215]
	s_delay_alu instid0(VALU_DEP_1) | instskip(SKIP_1) | instid1(VALU_DEP_1)
	v_add_f64 v[62:63], v[64:65], v[62:63]
	v_fma_f64 v[64:65], v[236:237], s[0:1], -v[220:221]
	v_add_f64 v[64:65], v[64:65], v[54:55]
	v_mul_f64 v[54:55], v[238:239], s[30:31]
	s_delay_alu instid0(VALU_DEP_1) | instskip(SKIP_1) | instid1(VALU_DEP_2)
	v_fma_f64 v[66:67], v[52:53], s[0:1], v[54:55]
	v_fma_f64 v[54:55], v[52:53], s[0:1], -v[54:55]
	v_add_f64 v[66:67], v[66:67], v[62:63]
	v_fma_f64 v[62:63], v[202:203], s[18:19], v[72:73]
	s_delay_alu instid0(VALU_DEP_1) | instskip(SKIP_1) | instid1(VALU_DEP_1)
	v_add_f64 v[4:5], v[62:63], v[4:5]
	v_fma_f64 v[62:63], v[206:207], s[18:19], -v[74:75]
	v_add_f64 v[60:61], v[62:63], v[60:61]
	v_fma_f64 v[62:63], v[224:225], s[14:15], v[80:81]
	v_mul_f64 v[80:81], v[196:197], s[38:39]
	s_delay_alu instid0(VALU_DEP_2) | instskip(SKIP_2) | instid1(VALU_DEP_4)
	v_add_f64 v[4:5], v[62:63], v[4:5]
	v_fma_f64 v[62:63], v[232:233], s[14:15], -v[214:215]
	v_mul_f64 v[214:215], v[200:201], s[34:35]
	v_fma_f64 v[72:73], v[198:199], s[18:19], v[80:81]
	s_delay_alu instid0(VALU_DEP_3) | instskip(SKIP_1) | instid1(VALU_DEP_4)
	v_add_f64 v[62:63], v[62:63], v[60:61]
	v_fma_f64 v[60:61], v[236:237], s[0:1], v[220:221]
	v_fma_f64 v[74:75], v[202:203], s[12:13], -v[214:215]
	s_delay_alu instid0(VALU_DEP_4) | instskip(SKIP_4) | instid1(VALU_DEP_1)
	v_add_f64 v[72:73], v[72:73], v[228:229]
	v_mul_f64 v[220:221], v[230:231], s[22:23]
	v_add_f64 v[62:63], v[54:55], v[62:63]
	v_add_f64 v[60:61], v[60:61], v[4:5]
	v_mul_f64 v[4:5], v[0:1], s[38:39]
	v_fma_f64 v[54:55], v[2:3], s[18:19], -v[4:5]
	v_fma_f64 v[4:5], v[2:3], s[18:19], v[4:5]
	s_delay_alu instid0(VALU_DEP_2) | instskip(NEXT) | instid1(VALU_DEP_2)
	v_add_f64 v[54:55], v[54:55], v[218:219]
	v_add_f64 v[4:5], v[4:5], v[70:71]
	v_fma_f64 v[70:71], v[198:199], s[18:19], -v[80:81]
	v_mul_f64 v[218:219], v[208:209], s[22:23]
	v_mul_f64 v[80:81], v[196:197], s[36:37]
	v_add_f64 v[54:55], v[74:75], v[54:55]
	v_fma_f64 v[74:75], v[206:207], s[12:13], v[216:217]
	v_add_f64 v[68:69], v[70:71], v[68:69]
	v_fma_f64 v[70:71], v[202:203], s[12:13], v[214:215]
	v_mul_f64 v[214:215], v[200:201], s[22:23]
	s_delay_alu instid0(VALU_DEP_4) | instskip(SKIP_1) | instid1(VALU_DEP_4)
	v_add_f64 v[72:73], v[74:75], v[72:73]
	v_fma_f64 v[74:75], v[224:225], s[0:1], -v[218:219]
	v_add_f64 v[4:5], v[70:71], v[4:5]
	v_fma_f64 v[70:71], v[206:207], s[12:13], -v[216:217]
	v_mul_f64 v[216:217], v[204:205], s[22:23]
	s_delay_alu instid0(VALU_DEP_4) | instskip(SKIP_1) | instid1(VALU_DEP_4)
	v_add_f64 v[54:55], v[74:75], v[54:55]
	v_fma_f64 v[74:75], v[232:233], s[0:1], v[220:221]
	v_add_f64 v[68:69], v[70:71], v[68:69]
	v_fma_f64 v[70:71], v[224:225], s[0:1], v[218:219]
	v_mul_f64 v[218:219], v[208:209], s[26:27]
	s_delay_alu instid0(VALU_DEP_4) | instskip(SKIP_1) | instid1(VALU_DEP_4)
	v_add_f64 v[74:75], v[74:75], v[72:73]
	v_fma_f64 v[72:73], v[236:237], s[16:17], -v[222:223]
	v_add_f64 v[4:5], v[70:71], v[4:5]
	v_fma_f64 v[70:71], v[232:233], s[0:1], -v[220:221]
	v_mul_f64 v[220:221], v[230:231], s[26:27]
	s_delay_alu instid0(VALU_DEP_4) | instskip(SKIP_1) | instid1(VALU_DEP_4)
	v_add_f64 v[72:73], v[72:73], v[54:55]
	v_mul_f64 v[54:55], v[238:239], s[24:25]
	v_add_f64 v[70:71], v[70:71], v[68:69]
	v_fma_f64 v[68:69], v[236:237], s[16:17], v[222:223]
	v_mul_f64 v[222:223], v[234:235], s[34:35]
	s_delay_alu instid0(VALU_DEP_4) | instskip(SKIP_1) | instid1(VALU_DEP_4)
	v_fma_f64 v[228:229], v[52:53], s[16:17], v[54:55]
	v_fma_f64 v[54:55], v[52:53], s[16:17], -v[54:55]
	v_add_f64 v[68:69], v[68:69], v[4:5]
	v_mul_f64 v[4:5], v[0:1], s[36:37]
	v_mul_f64 v[0:1], v[0:1], s[30:31]
	v_add_f64 v[74:75], v[228:229], v[74:75]
	v_add_f64 v[70:71], v[54:55], v[70:71]
	s_delay_alu instid0(VALU_DEP_4) | instskip(SKIP_1) | instid1(VALU_DEP_2)
	v_fma_f64 v[54:55], v[2:3], s[14:15], -v[4:5]
	v_fma_f64 v[4:5], v[2:3], s[14:15], v[4:5]
	v_add_f64 v[54:55], v[54:55], v[78:79]
	v_fma_f64 v[78:79], v[198:199], s[14:15], v[80:81]
	s_delay_alu instid0(VALU_DEP_3) | instskip(SKIP_1) | instid1(VALU_DEP_3)
	v_add_f64 v[4:5], v[4:5], v[178:179]
	v_add_f64 v[178:179], v[96:97], v[100:101]
	;; [unrolled: 1-line block ×3, first 2 shown]
	v_fma_f64 v[78:79], v[202:203], s[0:1], -v[214:215]
	s_delay_alu instid0(VALU_DEP_1) | instskip(SKIP_1) | instid1(VALU_DEP_1)
	v_add_f64 v[54:55], v[78:79], v[54:55]
	v_fma_f64 v[78:79], v[206:207], s[0:1], v[216:217]
	v_add_f64 v[76:77], v[78:79], v[76:77]
	v_fma_f64 v[78:79], v[224:225], s[18:19], -v[218:219]
	s_delay_alu instid0(VALU_DEP_1) | instskip(SKIP_1) | instid1(VALU_DEP_1)
	v_add_f64 v[54:55], v[78:79], v[54:55]
	v_fma_f64 v[78:79], v[232:233], s[18:19], v[220:221]
	v_add_f64 v[78:79], v[78:79], v[76:77]
	v_fma_f64 v[76:77], v[236:237], s[12:13], -v[222:223]
	s_delay_alu instid0(VALU_DEP_1) | instskip(SKIP_1) | instid1(VALU_DEP_1)
	v_add_f64 v[76:77], v[76:77], v[54:55]
	v_mul_f64 v[54:55], v[238:239], s[34:35]
	v_fma_f64 v[228:229], v[52:53], s[12:13], v[54:55]
	v_fma_f64 v[54:55], v[52:53], s[12:13], -v[54:55]
	s_delay_alu instid0(VALU_DEP_2)
	v_add_f64 v[78:79], v[228:229], v[78:79]
	s_clause 0x1
	scratch_load_b64 v[228:229], off, off offset:1116
	scratch_load_b64 v[12:13], off, off offset:4
	s_waitcnt vmcnt(0)
	v_add_f64 v[6:7], v[12:13], v[6:7]
	scratch_load_b64 v[12:13], off, off offset:20 ; 8-byte Folded Reload
	v_add_f64 v[6:7], v[6:7], v[184:185]
	v_add_f64 v[184:185], v[96:97], -v[100:101]
	s_delay_alu instid0(VALU_DEP_2) | instskip(SKIP_1) | instid1(VALU_DEP_2)
	v_add_f64 v[6:7], v[6:7], v[188:189]
	v_add_f64 v[188:189], v[90:91], v[94:95]
	;; [unrolled: 1-line block ×3, first 2 shown]
	v_add_f64 v[192:193], v[88:89], -v[92:93]
	s_delay_alu instid0(VALU_DEP_2) | instskip(SKIP_2) | instid1(VALU_DEP_1)
	v_add_f64 v[6:7], v[6:7], v[240:241]
	scratch_load_b64 v[240:241], off, off offset:1100 ; 8-byte Folded Reload
	v_add_f64 v[6:7], v[6:7], v[146:147]
	v_add_f64 v[6:7], v[6:7], v[244:245]
	scratch_load_b64 v[244:245], off, off offset:1216 ; 8-byte Folded Reload
	v_add_f64 v[6:7], v[6:7], v[248:249]
	s_clause 0x1
	scratch_load_b64 v[248:249], off, off offset:1184
	scratch_load_b64 v[14:15], off, off offset:196
	s_waitcnt vmcnt(4)
	v_add_f64 v[82:83], v[12:13], v[82:83]
	s_delay_alu instid0(VALU_DEP_1) | instskip(SKIP_1) | instid1(VALU_DEP_2)
	v_add_f64 v[82:83], v[82:83], v[186:187]
	v_add_f64 v[186:187], v[90:91], -v[94:95]
	v_add_f64 v[82:83], v[82:83], v[190:191]
	v_add_f64 v[190:191], v[88:89], v[92:93]
	s_delay_alu instid0(VALU_DEP_2) | instskip(NEXT) | instid1(VALU_DEP_1)
	v_add_f64 v[82:83], v[82:83], v[194:195]
	v_add_f64 v[82:83], v[82:83], v[144:145]
	;; [unrolled: 1-line block ×4, first 2 shown]
	s_delay_alu instid0(VALU_DEP_3)
	v_add_f64 v[82:83], v[82:83], v[242:243]
	scratch_load_b64 v[242:243], off, off offset:1200 ; 8-byte Folded Reload
	v_add_f64 v[6:7], v[6:7], v[138:139]
	v_mul_f64 v[138:139], v[238:239], s[20:21]
	scratch_load_b64 v[238:239], off, off offset:1060 ; 8-byte Folded Reload
	v_add_f64 v[82:83], v[82:83], v[246:247]
	scratch_load_b64 v[246:247], off, off offset:1164 ; 8-byte Folded Reload
	v_add_f64 v[6:7], v[6:7], v[128:129]
	v_add_f64 v[82:83], v[82:83], v[148:149]
	s_delay_alu instid0(VALU_DEP_2) | instskip(NEXT) | instid1(VALU_DEP_2)
	v_add_f64 v[6:7], v[6:7], v[140:141]
	v_add_f64 v[146:147], v[82:83], v[136:137]
	;; [unrolled: 1-line block ×3, first 2 shown]
	s_delay_alu instid0(VALU_DEP_3)
	v_add_f64 v[6:7], v[6:7], v[124:125]
	v_mul_f64 v[124:125], v[200:201], s[24:25]
	v_mul_f64 v[136:137], v[234:235], s[20:21]
	scratch_load_b64 v[234:235], off, off offset:1028 ; 8-byte Folded Reload
	v_add_f64 v[82:83], v[82:83], v[250:251]
	v_add_f64 v[6:7], v[6:7], v[152:153]
	scratch_load_b64 v[250:251], off, off offset:1132 ; 8-byte Folded Reload
	v_add_f64 v[82:83], v[82:83], v[130:131]
	v_add_f64 v[6:7], v[6:7], v[156:157]
	s_delay_alu instid0(VALU_DEP_2) | instskip(NEXT) | instid1(VALU_DEP_2)
	v_add_f64 v[82:83], v[82:83], v[126:127]
	v_add_f64 v[6:7], v[6:7], v[160:161]
	v_fma_f64 v[126:127], v[202:203], s[16:17], -v[124:125]
	s_delay_alu instid0(VALU_DEP_3) | instskip(NEXT) | instid1(VALU_DEP_3)
	v_add_f64 v[82:83], v[82:83], v[142:143]
	v_add_f64 v[84:85], v[6:7], v[164:165]
	v_fma_f64 v[6:7], v[198:199], s[14:15], -v[80:81]
	v_fma_f64 v[80:81], v[202:203], s[0:1], v[214:215]
	s_delay_alu instid0(VALU_DEP_4) | instskip(NEXT) | instid1(VALU_DEP_3)
	v_add_f64 v[82:83], v[82:83], v[154:155]
	v_add_f64 v[6:7], v[6:7], v[172:173]
	s_delay_alu instid0(VALU_DEP_3) | instskip(SKIP_3) | instid1(VALU_DEP_3)
	v_add_f64 v[4:5], v[80:81], v[4:5]
	v_fma_f64 v[80:81], v[206:207], s[0:1], -v[216:217]
	v_add_f64 v[172:173], v[102:103], -v[112:113]
	v_add_f64 v[82:83], v[82:83], v[158:159]
	v_add_f64 v[6:7], v[80:81], v[6:7]
	v_fma_f64 v[80:81], v[224:225], s[18:19], v[218:219]
	s_delay_alu instid0(VALU_DEP_3) | instskip(NEXT) | instid1(VALU_DEP_2)
	v_add_f64 v[82:83], v[82:83], v[162:163]
	v_add_f64 v[4:5], v[80:81], v[4:5]
	v_fma_f64 v[80:81], v[232:233], s[18:19], -v[220:221]
	s_delay_alu instid0(VALU_DEP_3) | instskip(SKIP_1) | instid1(VALU_DEP_3)
	v_add_f64 v[86:87], v[82:83], v[166:167]
	v_add_f64 v[166:167], v[110:111], v[118:119]
	;; [unrolled: 1-line block ×3, first 2 shown]
	v_fma_f64 v[80:81], v[236:237], s[12:13], v[222:223]
	s_delay_alu instid0(VALU_DEP_2) | instskip(NEXT) | instid1(VALU_DEP_2)
	v_add_f64 v[82:83], v[54:55], v[6:7]
	v_add_f64 v[80:81], v[80:81], v[4:5]
	v_fma_f64 v[4:5], v[2:3], s[0:1], -v[0:1]
	v_mul_f64 v[6:7], v[196:197], s[30:31]
	v_fma_f64 v[0:1], v[2:3], s[0:1], v[0:1]
	s_delay_alu instid0(VALU_DEP_3) | instskip(NEXT) | instid1(VALU_DEP_3)
	v_add_f64 v[4:5], v[4:5], v[176:177]
	v_fma_f64 v[54:55], v[198:199], s[0:1], v[6:7]
	v_fma_f64 v[2:3], v[198:199], s[0:1], -v[6:7]
	s_delay_alu instid0(VALU_DEP_4)
	v_add_f64 v[0:1], v[0:1], v[168:169]
	v_add_f64 v[168:169], v[108:109], v[116:117]
	;; [unrolled: 1-line block ×4, first 2 shown]
	v_mul_f64 v[126:127], v[204:205], s[24:25]
	v_add_f64 v[54:55], v[54:55], v[174:175]
	v_add_f64 v[2:3], v[2:3], v[170:171]
	;; [unrolled: 1-line block ×3, first 2 shown]
	v_add_f64 v[174:175], v[98:99], -v[104:105]
	v_fma_f64 v[128:129], v[206:207], s[16:17], v[126:127]
	v_fma_f64 v[6:7], v[206:207], s[16:17], -v[126:127]
	s_delay_alu instid0(VALU_DEP_2) | instskip(SKIP_1) | instid1(VALU_DEP_3)
	v_add_f64 v[54:55], v[128:129], v[54:55]
	v_mul_f64 v[128:129], v[208:209], s[34:35]
	v_add_f64 v[2:3], v[6:7], v[2:3]
	s_delay_alu instid0(VALU_DEP_2) | instskip(NEXT) | instid1(VALU_DEP_1)
	v_fma_f64 v[130:131], v[224:225], s[12:13], -v[128:129]
	v_add_f64 v[4:5], v[130:131], v[4:5]
	v_mul_f64 v[130:131], v[230:231], s[34:35]
	scratch_load_b64 v[230:231], off, off offset:1084 ; 8-byte Folded Reload
	v_fma_f64 v[132:133], v[232:233], s[12:13], v[130:131]
	v_fma_f64 v[6:7], v[232:233], s[12:13], -v[130:131]
	scratch_load_b64 v[232:233], off, off offset:996 ; 8-byte Folded Reload
	v_add_f64 v[54:55], v[132:133], v[54:55]
	v_fma_f64 v[132:133], v[236:237], s[14:15], -v[136:137]
	v_add_f64 v[2:3], v[6:7], v[2:3]
	v_fma_f64 v[6:7], v[52:53], s[14:15], -v[138:139]
	s_delay_alu instid0(VALU_DEP_3) | instskip(SKIP_1) | instid1(VALU_DEP_3)
	v_add_f64 v[132:133], v[132:133], v[4:5]
	v_fma_f64 v[4:5], v[52:53], s[14:15], v[138:139]
	v_add_f64 v[150:151], v[6:7], v[2:3]
	v_add_f64 v[2:3], v[10:11], v[254:255]
	v_add_f64 v[6:7], v[252:253], -v[120:121]
	s_delay_alu instid0(VALU_DEP_4) | instskip(SKIP_1) | instid1(VALU_DEP_4)
	v_add_f64 v[134:135], v[4:5], v[54:55]
	v_fma_f64 v[4:5], v[202:203], s[16:17], v[124:125]
	v_add_f64 v[2:3], v[2:3], v[110:111]
	s_delay_alu instid0(VALU_DEP_4)
	v_mul_f64 v[142:143], v[6:7], s[28:29]
	v_mul_f64 v[152:153], v[6:7], s[20:21]
	;; [unrolled: 1-line block ×3, first 2 shown]
	v_add_f64 v[0:1], v[4:5], v[0:1]
	v_fma_f64 v[4:5], v[224:225], s[12:13], v[128:129]
	v_add_f64 v[2:3], v[2:3], v[106:107]
	scratch_load_b64 v[224:225], off, off offset:980 ; 8-byte Folded Reload
	v_add_f64 v[0:1], v[4:5], v[0:1]
	v_fma_f64 v[4:5], v[236:237], s[14:15], v[136:137]
	v_add_f64 v[2:3], v[2:3], v[98:99]
	s_delay_alu instid0(VALU_DEP_2) | instskip(SKIP_1) | instid1(VALU_DEP_3)
	v_add_f64 v[148:149], v[4:5], v[0:1]
	v_add_f64 v[0:1], v[8:9], v[252:253]
	;; [unrolled: 1-line block ×4, first 2 shown]
	s_clause 0x1
	scratch_load_b64 v[252:253], off, off offset:1012
	scratch_load_b64 v[236:237], off, off offset:964
	v_add_f64 v[0:1], v[0:1], v[108:109]
	v_add_f64 v[2:3], v[2:3], v[94:95]
	s_delay_alu instid0(VALU_DEP_2) | instskip(NEXT) | instid1(VALU_DEP_2)
	v_add_f64 v[0:1], v[0:1], v[102:103]
	v_add_f64 v[2:3], v[2:3], v[104:105]
	v_mul_f64 v[104:105], v[184:185], s[36:37]
	s_delay_alu instid0(VALU_DEP_3) | instskip(NEXT) | instid1(VALU_DEP_3)
	v_add_f64 v[0:1], v[0:1], v[96:97]
	v_add_f64 v[2:3], v[2:3], v[114:115]
	v_mul_f64 v[96:97], v[174:175], s[24:25]
	s_delay_alu instid0(VALU_DEP_3) | instskip(NEXT) | instid1(VALU_DEP_3)
	v_add_f64 v[0:1], v[0:1], v[88:89]
	v_add_f64 v[2:3], v[2:3], v[118:119]
	s_delay_alu instid0(VALU_DEP_3) | instskip(NEXT) | instid1(VALU_DEP_3)
	v_fma_f64 v[98:99], v[178:179], s[16:17], -v[96:97]
	v_add_f64 v[0:1], v[0:1], v[92:93]
	s_delay_alu instid0(VALU_DEP_3) | instskip(SKIP_2) | instid1(VALU_DEP_4)
	v_add_f64 v[138:139], v[2:3], v[122:123]
	v_add_f64 v[2:3], v[254:255], v[122:123]
	v_mul_f64 v[92:93], v[186:187], s[26:27]
	v_add_f64 v[0:1], v[0:1], v[100:101]
	s_delay_alu instid0(VALU_DEP_3)
	v_fma_f64 v[158:159], v[2:3], s[12:13], v[142:143]
	v_fma_f64 v[160:161], v[2:3], s[14:15], v[152:153]
	;; [unrolled: 1-line block ×3, first 2 shown]
	v_fma_f64 v[142:143], v[2:3], s[12:13], -v[142:143]
	v_fma_f64 v[152:153], v[2:3], s[14:15], -v[152:153]
	;; [unrolled: 1-line block ×4, first 2 shown]
	v_add_f64 v[0:1], v[0:1], v[112:113]
	v_mul_f64 v[112:113], v[186:187], s[24:25]
	v_add_f64 v[142:143], v[10:11], v[142:143]
	v_add_f64 v[152:153], v[10:11], v[152:153]
	;; [unrolled: 1-line block ×4, first 2 shown]
	v_add_f64 v[116:117], v[108:109], -v[116:117]
	s_delay_alu instid0(VALU_DEP_2) | instskip(SKIP_1) | instid1(VALU_DEP_1)
	v_add_f64 v[136:137], v[0:1], v[120:121]
	v_add_f64 v[0:1], v[254:255], -v[122:123]
	v_mul_f64 v[52:53], v[0:1], s[22:23]
	v_mul_f64 v[54:55], v[0:1], s[28:29]
	;; [unrolled: 1-line block ×5, first 2 shown]
	v_fma_f64 v[124:125], v[4:5], s[0:1], -v[52:53]
	v_fma_f64 v[52:53], v[4:5], s[0:1], v[52:53]
	v_fma_f64 v[126:127], v[4:5], s[12:13], -v[54:55]
	v_fma_f64 v[54:55], v[4:5], s[12:13], v[54:55]
	;; [unrolled: 2-line block ×5, first 2 shown]
	v_mul_f64 v[4:5], v[6:7], s[22:23]
	v_mul_f64 v[6:7], v[6:7], s[26:27]
	v_add_f64 v[52:53], v[8:9], v[52:53]
	v_add_f64 v[126:127], v[8:9], v[126:127]
	;; [unrolled: 1-line block ×9, first 2 shown]
	v_fma_f64 v[156:157], v[2:3], s[0:1], v[4:5]
	v_fma_f64 v[164:165], v[2:3], s[18:19], v[6:7]
	v_fma_f64 v[4:5], v[2:3], s[0:1], -v[4:5]
	v_fma_f64 v[2:3], v[2:3], s[18:19], -v[6:7]
	v_add_f64 v[6:7], v[8:9], v[124:125]
	v_add_f64 v[124:125], v[10:11], v[156:157]
	;; [unrolled: 1-line block ×6, first 2 shown]
	v_add_f64 v[164:165], v[110:111], -v[118:119]
	v_add_f64 v[4:5], v[10:11], v[4:5]
	v_add_f64 v[2:3], v[10:11], v[2:3]
	v_add_f64 v[118:119], v[106:107], -v[114:115]
	s_delay_alu instid0(VALU_DEP_4) | instskip(NEXT) | instid1(VALU_DEP_2)
	v_mul_f64 v[8:9], v[164:165], s[28:29]
	v_mul_f64 v[102:103], v[118:119], s[20:21]
	;; [unrolled: 1-line block ×3, first 2 shown]
	s_delay_alu instid0(VALU_DEP_3) | instskip(SKIP_1) | instid1(VALU_DEP_2)
	v_fma_f64 v[10:11], v[168:169], s[12:13], -v[8:9]
	v_fma_f64 v[8:9], v[168:169], s[12:13], v[8:9]
	v_add_f64 v[6:7], v[10:11], v[6:7]
	v_mul_f64 v[10:11], v[116:117], s[28:29]
	s_delay_alu instid0(VALU_DEP_3) | instskip(SKIP_1) | instid1(VALU_DEP_3)
	v_add_f64 v[8:9], v[8:9], v[52:53]
	v_mul_f64 v[52:53], v[116:117], s[24:25]
	v_fma_f64 v[108:109], v[166:167], s[12:13], v[10:11]
	v_fma_f64 v[10:11], v[166:167], s[12:13], -v[10:11]
	s_delay_alu instid0(VALU_DEP_2) | instskip(SKIP_2) | instid1(VALU_DEP_4)
	v_add_f64 v[108:109], v[108:109], v[124:125]
	v_add_f64 v[124:125], v[106:107], v[114:115]
	v_fma_f64 v[106:107], v[170:171], s[14:15], -v[102:103]
	v_add_f64 v[4:5], v[10:11], v[4:5]
	v_fma_f64 v[10:11], v[170:171], s[14:15], v[102:103]
	v_mul_f64 v[102:103], v[174:175], s[36:37]
	v_mul_f64 v[114:115], v[172:173], s[22:23]
	v_add_f64 v[6:7], v[106:107], v[6:7]
	v_mul_f64 v[106:107], v[172:173], s[20:21]
	v_add_f64 v[8:9], v[10:11], v[8:9]
	s_delay_alu instid0(VALU_DEP_3) | instskip(NEXT) | instid1(VALU_DEP_3)
	v_add_f64 v[6:7], v[98:99], v[6:7]
	v_fma_f64 v[10:11], v[124:125], s[14:15], -v[106:107]
	v_mul_f64 v[98:99], v[184:185], s[24:25]
	v_fma_f64 v[110:111], v[124:125], s[14:15], v[106:107]
	v_mul_f64 v[106:107], v[186:187], s[30:31]
	v_add_f64 v[88:89], v[88:89], v[6:7]
	v_add_f64 v[4:5], v[10:11], v[4:5]
	v_fma_f64 v[10:11], v[178:179], s[16:17], v[96:97]
	v_mul_f64 v[6:7], v[192:193], s[26:27]
	v_add_f64 v[108:109], v[110:111], v[108:109]
	v_fma_f64 v[100:101], v[176:177], s[16:17], v[98:99]
	v_fma_f64 v[96:97], v[170:171], s[18:19], -v[94:95]
	v_mul_f64 v[110:111], v[184:185], s[22:23]
	v_add_f64 v[8:9], v[10:11], v[8:9]
	v_fma_f64 v[10:11], v[176:177], s[16:17], -v[98:99]
	v_fma_f64 v[90:91], v[188:189], s[18:19], v[6:7]
	v_fma_f64 v[6:7], v[188:189], s[18:19], -v[6:7]
	v_add_f64 v[100:101], v[100:101], v[108:109]
	v_mul_f64 v[108:109], v[174:175], s[22:23]
	v_add_f64 v[4:5], v[10:11], v[4:5]
	v_fma_f64 v[10:11], v[190:191], s[18:19], v[92:93]
	v_fma_f64 v[92:93], v[166:167], s[16:17], v[52:53]
	v_add_f64 v[90:91], v[90:91], v[100:101]
	v_mul_f64 v[100:101], v[172:173], s[38:39]
	v_fma_f64 v[52:53], v[166:167], s[16:17], -v[52:53]
	v_add_f64 v[8:9], v[10:11], v[8:9]
	v_add_f64 v[10:11], v[6:7], v[4:5]
	v_mul_f64 v[4:5], v[164:165], s[24:25]
	v_add_f64 v[92:93], v[92:93], v[156:157]
	v_add_f64 v[52:53], v[52:53], v[142:143]
	s_delay_alu instid0(VALU_DEP_3) | instskip(SKIP_1) | instid1(VALU_DEP_2)
	v_fma_f64 v[6:7], v[168:169], s[16:17], -v[4:5]
	v_fma_f64 v[4:5], v[168:169], s[16:17], v[4:5]
	v_add_f64 v[6:7], v[6:7], v[126:127]
	s_delay_alu instid0(VALU_DEP_2) | instskip(SKIP_2) | instid1(VALU_DEP_4)
	v_add_f64 v[4:5], v[4:5], v[54:55]
	v_fma_f64 v[54:55], v[170:171], s[18:19], v[94:95]
	v_mul_f64 v[126:127], v[184:185], s[26:27]
	v_add_f64 v[6:7], v[96:97], v[6:7]
	v_fma_f64 v[96:97], v[124:125], s[18:19], v[100:101]
	s_delay_alu instid0(VALU_DEP_4) | instskip(SKIP_2) | instid1(VALU_DEP_4)
	v_add_f64 v[4:5], v[54:55], v[4:5]
	v_fma_f64 v[54:55], v[124:125], s[18:19], -v[100:101]
	v_mul_f64 v[100:101], v[118:119], s[34:35]
	v_add_f64 v[92:93], v[96:97], v[92:93]
	v_fma_f64 v[96:97], v[178:179], s[14:15], -v[102:103]
	s_delay_alu instid0(VALU_DEP_4) | instskip(SKIP_2) | instid1(VALU_DEP_4)
	v_add_f64 v[52:53], v[54:55], v[52:53]
	v_fma_f64 v[54:55], v[178:179], s[14:15], v[102:103]
	v_fma_f64 v[102:103], v[170:171], s[12:13], -v[100:101]
	v_add_f64 v[6:7], v[96:97], v[6:7]
	v_fma_f64 v[96:97], v[176:177], s[14:15], v[104:105]
	s_delay_alu instid0(VALU_DEP_4) | instskip(SKIP_1) | instid1(VALU_DEP_3)
	v_add_f64 v[4:5], v[54:55], v[4:5]
	v_fma_f64 v[54:55], v[176:177], s[14:15], -v[104:105]
	v_add_f64 v[92:93], v[96:97], v[92:93]
	v_fma_f64 v[96:97], v[190:191], s[0:1], -v[106:107]
	s_delay_alu instid0(VALU_DEP_3) | instskip(SKIP_1) | instid1(VALU_DEP_3)
	v_add_f64 v[52:53], v[54:55], v[52:53]
	v_fma_f64 v[54:55], v[190:191], s[0:1], v[106:107]
	v_add_f64 v[96:97], v[96:97], v[6:7]
	v_mul_f64 v[6:7], v[192:193], s[30:31]
	s_delay_alu instid0(VALU_DEP_1) | instskip(SKIP_1) | instid1(VALU_DEP_2)
	v_fma_f64 v[98:99], v[188:189], s[0:1], v[6:7]
	v_fma_f64 v[6:7], v[188:189], s[0:1], -v[6:7]
	v_add_f64 v[98:99], v[98:99], v[92:93]
	v_add_f64 v[92:93], v[54:55], v[4:5]
	v_mul_f64 v[4:5], v[164:165], s[38:39]
	s_delay_alu instid0(VALU_DEP_4) | instskip(SKIP_1) | instid1(VALU_DEP_3)
	v_add_f64 v[94:95], v[6:7], v[52:53]
	v_mul_f64 v[52:53], v[116:117], s[38:39]
	v_fma_f64 v[6:7], v[168:169], s[18:19], -v[4:5]
	v_fma_f64 v[4:5], v[168:169], s[18:19], v[4:5]
	s_delay_alu instid0(VALU_DEP_3) | instskip(SKIP_1) | instid1(VALU_DEP_4)
	v_fma_f64 v[54:55], v[166:167], s[18:19], v[52:53]
	v_fma_f64 v[52:53], v[166:167], s[18:19], -v[52:53]
	v_add_f64 v[6:7], v[6:7], v[128:129]
	s_delay_alu instid0(VALU_DEP_4) | instskip(NEXT) | instid1(VALU_DEP_4)
	v_add_f64 v[4:5], v[4:5], v[120:121]
	v_add_f64 v[54:55], v[54:55], v[158:159]
	s_delay_alu instid0(VALU_DEP_4)
	v_add_f64 v[52:53], v[52:53], v[152:153]
	v_mul_f64 v[120:121], v[174:175], s[26:27]
	v_mul_f64 v[128:129], v[186:187], s[34:35]
	s_waitcnt vmcnt(0)
	v_add_f64 v[152:153], v[236:237], v[14:15]
	v_add_f64 v[6:7], v[102:103], v[6:7]
	v_mul_f64 v[102:103], v[172:173], s[34:35]
	s_delay_alu instid0(VALU_DEP_1) | instskip(NEXT) | instid1(VALU_DEP_1)
	v_fma_f64 v[104:105], v[124:125], s[12:13], v[102:103]
	v_add_f64 v[54:55], v[104:105], v[54:55]
	v_fma_f64 v[104:105], v[178:179], s[0:1], -v[108:109]
	s_delay_alu instid0(VALU_DEP_1) | instskip(SKIP_1) | instid1(VALU_DEP_1)
	v_add_f64 v[6:7], v[104:105], v[6:7]
	v_fma_f64 v[104:105], v[176:177], s[0:1], v[110:111]
	v_add_f64 v[54:55], v[104:105], v[54:55]
	v_fma_f64 v[104:105], v[190:191], s[16:17], -v[112:113]
	s_delay_alu instid0(VALU_DEP_1) | instskip(SKIP_1) | instid1(VALU_DEP_1)
	v_add_f64 v[104:105], v[104:105], v[6:7]
	v_mul_f64 v[6:7], v[192:193], s[24:25]
	v_fma_f64 v[106:107], v[188:189], s[16:17], v[6:7]
	v_fma_f64 v[6:7], v[188:189], s[16:17], -v[6:7]
	s_delay_alu instid0(VALU_DEP_2) | instskip(SKIP_1) | instid1(VALU_DEP_1)
	v_add_f64 v[106:107], v[106:107], v[54:55]
	v_fma_f64 v[54:55], v[170:171], s[12:13], v[100:101]
	v_add_f64 v[4:5], v[54:55], v[4:5]
	v_fma_f64 v[54:55], v[124:125], s[12:13], -v[102:103]
	s_delay_alu instid0(VALU_DEP_1) | instskip(SKIP_1) | instid1(VALU_DEP_1)
	v_add_f64 v[52:53], v[54:55], v[52:53]
	v_fma_f64 v[54:55], v[178:179], s[0:1], v[108:109]
	v_add_f64 v[4:5], v[54:55], v[4:5]
	v_fma_f64 v[54:55], v[176:177], s[0:1], -v[110:111]
	s_delay_alu instid0(VALU_DEP_1) | instskip(SKIP_2) | instid1(VALU_DEP_3)
	v_add_f64 v[52:53], v[54:55], v[52:53]
	v_fma_f64 v[54:55], v[190:191], s[16:17], v[112:113]
	v_mul_f64 v[112:113], v[118:119], s[22:23]
	v_add_f64 v[102:103], v[6:7], v[52:53]
	s_delay_alu instid0(VALU_DEP_3) | instskip(SKIP_3) | instid1(VALU_DEP_3)
	v_add_f64 v[100:101], v[54:55], v[4:5]
	v_mul_f64 v[4:5], v[164:165], s[36:37]
	v_mul_f64 v[52:53], v[116:117], s[36:37]
	v_fma_f64 v[108:109], v[170:171], s[0:1], -v[112:113]
	v_fma_f64 v[6:7], v[168:169], s[14:15], -v[4:5]
	s_delay_alu instid0(VALU_DEP_3) | instskip(SKIP_2) | instid1(VALU_DEP_4)
	v_fma_f64 v[54:55], v[166:167], s[14:15], v[52:53]
	v_fma_f64 v[4:5], v[168:169], s[14:15], v[4:5]
	v_fma_f64 v[52:53], v[166:167], s[14:15], -v[52:53]
	v_add_f64 v[6:7], v[6:7], v[130:131]
	s_delay_alu instid0(VALU_DEP_4) | instskip(NEXT) | instid1(VALU_DEP_4)
	v_add_f64 v[54:55], v[54:55], v[160:161]
	v_add_f64 v[4:5], v[4:5], v[122:123]
	s_delay_alu instid0(VALU_DEP_4)
	v_add_f64 v[52:53], v[52:53], v[154:155]
	v_mul_f64 v[122:123], v[172:173], s[24:25]
	v_mul_f64 v[130:131], v[186:187], s[20:21]
	v_add_f64 v[160:161], v[234:235], v[242:243]
	v_add_f64 v[186:187], v[234:235], -v[242:243]
	v_add_f64 v[6:7], v[108:109], v[6:7]
	v_fma_f64 v[108:109], v[124:125], s[0:1], v[114:115]
	s_delay_alu instid0(VALU_DEP_1) | instskip(SKIP_1) | instid1(VALU_DEP_1)
	v_add_f64 v[54:55], v[108:109], v[54:55]
	v_fma_f64 v[108:109], v[178:179], s[18:19], -v[120:121]
	v_add_f64 v[6:7], v[108:109], v[6:7]
	v_fma_f64 v[108:109], v[176:177], s[18:19], v[126:127]
	s_delay_alu instid0(VALU_DEP_1) | instskip(SKIP_1) | instid1(VALU_DEP_1)
	v_add_f64 v[54:55], v[108:109], v[54:55]
	v_fma_f64 v[108:109], v[190:191], s[12:13], -v[128:129]
	v_add_f64 v[108:109], v[108:109], v[6:7]
	v_mul_f64 v[6:7], v[192:193], s[34:35]
	s_delay_alu instid0(VALU_DEP_1) | instskip(SKIP_1) | instid1(VALU_DEP_2)
	v_fma_f64 v[110:111], v[188:189], s[12:13], v[6:7]
	v_fma_f64 v[6:7], v[188:189], s[12:13], -v[6:7]
	v_add_f64 v[110:111], v[110:111], v[54:55]
	v_fma_f64 v[54:55], v[170:171], s[0:1], v[112:113]
	s_delay_alu instid0(VALU_DEP_1) | instskip(SKIP_1) | instid1(VALU_DEP_1)
	v_add_f64 v[4:5], v[54:55], v[4:5]
	v_fma_f64 v[54:55], v[124:125], s[0:1], -v[114:115]
	v_add_f64 v[52:53], v[54:55], v[52:53]
	v_fma_f64 v[54:55], v[178:179], s[18:19], v[120:121]
	v_mul_f64 v[120:121], v[118:119], s[24:25]
	s_delay_alu instid0(VALU_DEP_2) | instskip(SKIP_2) | instid1(VALU_DEP_2)
	v_add_f64 v[4:5], v[54:55], v[4:5]
	v_fma_f64 v[54:55], v[176:177], s[18:19], -v[126:127]
	v_mul_f64 v[126:127], v[174:175], s[34:35]
	v_add_f64 v[52:53], v[54:55], v[52:53]
	v_fma_f64 v[54:55], v[190:191], s[12:13], v[128:129]
	v_mul_f64 v[128:129], v[184:185], s[34:35]
	v_add_f64 v[184:185], v[238:239], -v[244:245]
	s_delay_alu instid0(VALU_DEP_4) | instskip(NEXT) | instid1(VALU_DEP_4)
	v_add_f64 v[114:115], v[6:7], v[52:53]
	v_add_f64 v[112:113], v[54:55], v[4:5]
	v_mul_f64 v[4:5], v[164:165], s[30:31]
	v_mul_f64 v[52:53], v[116:117], s[30:31]
	v_fma_f64 v[116:117], v[170:171], s[16:17], -v[120:121]
	s_delay_alu instid0(VALU_DEP_3) | instskip(NEXT) | instid1(VALU_DEP_3)
	v_fma_f64 v[6:7], v[168:169], s[0:1], -v[4:5]
	v_fma_f64 v[54:55], v[166:167], s[0:1], v[52:53]
	v_fma_f64 v[4:5], v[168:169], s[0:1], v[4:5]
	v_add_f64 v[168:169], v[228:229], v[246:247]
	s_delay_alu instid0(VALU_DEP_4) | instskip(NEXT) | instid1(VALU_DEP_4)
	v_add_f64 v[6:7], v[6:7], v[140:141]
	v_add_f64 v[54:55], v[54:55], v[162:163]
	v_mul_f64 v[140:141], v[192:193], s[20:21]
	v_add_f64 v[0:1], v[4:5], v[0:1]
	v_fma_f64 v[4:5], v[170:171], s[16:17], v[120:121]
	v_add_f64 v[162:163], v[238:239], v[244:245]
	v_add_f64 v[6:7], v[116:117], v[6:7]
	v_fma_f64 v[116:117], v[124:125], s[16:17], v[122:123]
	s_delay_alu instid0(VALU_DEP_4) | instskip(SKIP_1) | instid1(VALU_DEP_3)
	v_add_f64 v[0:1], v[4:5], v[0:1]
	v_fma_f64 v[4:5], v[178:179], s[12:13], v[126:127]
	v_add_f64 v[54:55], v[116:117], v[54:55]
	v_fma_f64 v[116:117], v[178:179], s[12:13], -v[126:127]
	s_delay_alu instid0(VALU_DEP_3) | instskip(SKIP_1) | instid1(VALU_DEP_3)
	v_add_f64 v[0:1], v[4:5], v[0:1]
	v_fma_f64 v[4:5], v[190:191], s[14:15], v[130:131]
	v_add_f64 v[6:7], v[116:117], v[6:7]
	v_fma_f64 v[116:117], v[176:177], s[12:13], v[128:129]
	s_delay_alu instid0(VALU_DEP_3)
	v_add_f64 v[120:121], v[4:5], v[0:1]
	v_add_f64 v[4:5], v[236:237], -v[14:15]
	s_clause 0x1
	scratch_load_b64 v[14:15], off, off offset:932
	scratch_load_b64 v[12:13], off, off offset:164
	v_add_f64 v[54:55], v[116:117], v[54:55]
	v_fma_f64 v[116:117], v[190:191], s[14:15], -v[130:131]
	v_add_f64 v[190:191], v[228:229], -v[246:247]
	s_delay_alu instid0(VALU_DEP_2) | instskip(SKIP_1) | instid1(VALU_DEP_1)
	v_add_f64 v[116:117], v[116:117], v[6:7]
	v_fma_f64 v[6:7], v[188:189], s[14:15], v[140:141]
	v_add_f64 v[118:119], v[6:7], v[54:55]
	scratch_load_b64 v[54:55], off, off offset:180 ; 8-byte Folded Reload
	v_fma_f64 v[6:7], v[166:167], s[0:1], -v[52:53]
	scratch_load_b64 v[52:53], off, off offset:148 ; 8-byte Folded Reload
	v_add_f64 v[2:3], v[6:7], v[2:3]
	v_fma_f64 v[6:7], v[124:125], s[16:17], -v[122:123]
	s_delay_alu instid0(VALU_DEP_1) | instskip(SKIP_2) | instid1(VALU_DEP_2)
	v_add_f64 v[2:3], v[6:7], v[2:3]
	v_fma_f64 v[6:7], v[176:177], s[12:13], -v[128:129]
	v_mul_f64 v[128:129], v[4:5], s[28:29]
	v_add_f64 v[2:3], v[6:7], v[2:3]
	v_fma_f64 v[6:7], v[188:189], s[14:15], -v[140:141]
	s_delay_alu instid0(VALU_DEP_1)
	v_add_f64 v[122:123], v[6:7], v[2:3]
	s_waitcnt vmcnt(3)
	v_add_f64 v[192:193], v[14:15], -v[252:253]
	s_waitcnt vmcnt(2)
	v_add_f64 v[130:131], v[230:231], v[12:13]
	v_add_f64 v[178:179], v[14:15], v[252:253]
	s_delay_alu instid0(VALU_DEP_2) | instskip(SKIP_4) | instid1(VALU_DEP_2)
	v_fma_f64 v[6:7], v[130:131], s[12:13], v[128:129]
	s_waitcnt vmcnt(1)
	v_add_f64 v[0:1], v[240:241], -v[54:55]
	s_waitcnt vmcnt(0)
	v_add_f64 v[126:127], v[224:225], v[52:53]
	v_mul_f64 v[124:125], v[0:1], s[22:23]
	s_delay_alu instid0(VALU_DEP_1) | instskip(NEXT) | instid1(VALU_DEP_1)
	v_fma_f64 v[2:3], v[126:127], s[0:1], v[124:125]
	v_add_f64 v[2:3], v[180:181], v[2:3]
	s_delay_alu instid0(VALU_DEP_1)
	v_add_f64 v[2:3], v[6:7], v[2:3]
	v_dual_mov_b32 v6, v52 :: v_dual_mov_b32 v7, v53
	v_dual_mov_b32 v52, v54 :: v_dual_mov_b32 v53, v55
	v_add_f64 v[54:55], v[230:231], -v[12:13]
	scratch_load_b64 v[12:13], off, off offset:900 ; 8-byte Folded Reload
	v_add_f64 v[6:7], v[224:225], -v[6:7]
	v_add_f64 v[188:189], v[232:233], -v[248:249]
	v_add_f64 v[154:155], v[240:241], v[52:53]
	v_add_f64 v[170:171], v[232:233], v[248:249]
	v_mul_f64 v[140:141], v[54:55], s[28:29]
	v_mul_f64 v[202:203], v[54:55], s[24:25]
	v_mul_f64 v[142:143], v[6:7], s[22:23]
	s_delay_alu instid0(VALU_DEP_3) | instskip(NEXT) | instid1(VALU_DEP_3)
	v_fma_f64 v[156:157], v[152:153], s[12:13], -v[140:141]
	v_fma_f64 v[204:205], v[152:153], s[16:17], v[202:203]
	s_delay_alu instid0(VALU_DEP_3) | instskip(NEXT) | instid1(VALU_DEP_1)
	v_fma_f64 v[52:53], v[154:155], s[0:1], -v[142:143]
	v_add_f64 v[52:53], v[182:183], v[52:53]
	s_delay_alu instid0(VALU_DEP_1) | instskip(SKIP_1) | instid1(VALU_DEP_1)
	v_add_f64 v[52:53], v[156:157], v[52:53]
	v_mul_f64 v[156:157], v[184:185], s[20:21]
	v_fma_f64 v[158:159], v[160:161], s[14:15], v[156:157]
	s_delay_alu instid0(VALU_DEP_1) | instskip(SKIP_1) | instid1(VALU_DEP_1)
	v_add_f64 v[2:3], v[158:159], v[2:3]
	v_mul_f64 v[158:159], v[186:187], s[20:21]
	v_fma_f64 v[164:165], v[162:163], s[14:15], -v[158:159]
	s_delay_alu instid0(VALU_DEP_1) | instskip(SKIP_4) | instid1(VALU_DEP_3)
	v_add_f64 v[52:53], v[164:165], v[52:53]
	v_mul_f64 v[164:165], v[188:189], s[24:25]
	s_waitcnt vmcnt(0)
	v_add_f64 v[176:177], v[12:13], v[250:251]
	v_dual_mov_b32 v255, v13 :: v_dual_mov_b32 v254, v12
	v_fma_f64 v[166:167], v[168:169], s[16:17], v[164:165]
	s_delay_alu instid0(VALU_DEP_1) | instskip(SKIP_1) | instid1(VALU_DEP_1)
	v_add_f64 v[2:3], v[166:167], v[2:3]
	v_mul_f64 v[166:167], v[190:191], s[24:25]
	v_fma_f64 v[172:173], v[170:171], s[16:17], -v[166:167]
	s_delay_alu instid0(VALU_DEP_1) | instskip(SKIP_1) | instid1(VALU_DEP_1)
	v_add_f64 v[52:53], v[172:173], v[52:53]
	v_mul_f64 v[172:173], v[192:193], s[26:27]
	v_fma_f64 v[174:175], v[176:177], s[18:19], v[172:173]
	s_delay_alu instid0(VALU_DEP_1) | instskip(SKIP_2) | instid1(VALU_DEP_2)
	v_add_f64 v[196:197], v[174:175], v[2:3]
	v_add_f64 v[2:3], v[12:13], -v[250:251]
	v_dual_mov_b32 v12, v14 :: v_dual_mov_b32 v13, v15
	v_mul_f64 v[174:175], v[2:3], s[26:27]
	s_delay_alu instid0(VALU_DEP_1) | instskip(NEXT) | instid1(VALU_DEP_1)
	v_fma_f64 v[194:195], v[178:179], s[18:19], -v[174:175]
	v_add_f64 v[198:199], v[194:195], v[52:53]
	v_mul_f64 v[52:53], v[0:1], s[28:29]
	scratch_store_b128 off, v[196:199], off offset:132 ; 16-byte Folded Spill
	v_fma_f64 v[194:195], v[126:127], s[12:13], -v[52:53]
	v_mul_f64 v[196:197], v[4:5], s[24:25]
	v_fma_f64 v[52:53], v[126:127], s[12:13], v[52:53]
	s_delay_alu instid0(VALU_DEP_3) | instskip(NEXT) | instid1(VALU_DEP_3)
	v_add_f64 v[194:195], v[180:181], v[194:195]
	v_fma_f64 v[198:199], v[130:131], s[16:17], -v[196:197]
	s_delay_alu instid0(VALU_DEP_3) | instskip(SKIP_1) | instid1(VALU_DEP_3)
	v_add_f64 v[52:53], v[180:181], v[52:53]
	v_fma_f64 v[196:197], v[130:131], s[16:17], v[196:197]
	v_add_f64 v[194:195], v[198:199], v[194:195]
	v_mul_f64 v[198:199], v[6:7], s[28:29]
	s_delay_alu instid0(VALU_DEP_3) | instskip(NEXT) | instid1(VALU_DEP_2)
	v_add_f64 v[52:53], v[196:197], v[52:53]
	v_fma_f64 v[200:201], v[154:155], s[12:13], v[198:199]
	v_fma_f64 v[196:197], v[154:155], s[12:13], -v[198:199]
	v_fma_f64 v[198:199], v[152:153], s[16:17], -v[202:203]
	v_mul_f64 v[202:203], v[54:55], s[38:39]
	s_delay_alu instid0(VALU_DEP_4) | instskip(NEXT) | instid1(VALU_DEP_4)
	v_add_f64 v[200:201], v[182:183], v[200:201]
	v_add_f64 v[196:197], v[182:183], v[196:197]
	s_delay_alu instid0(VALU_DEP_2) | instskip(SKIP_1) | instid1(VALU_DEP_3)
	v_add_f64 v[200:201], v[204:205], v[200:201]
	v_mul_f64 v[204:205], v[184:185], s[38:39]
	v_add_f64 v[196:197], v[198:199], v[196:197]
	s_delay_alu instid0(VALU_DEP_2) | instskip(SKIP_2) | instid1(VALU_DEP_3)
	v_fma_f64 v[206:207], v[160:161], s[18:19], -v[204:205]
	v_fma_f64 v[198:199], v[160:161], s[18:19], v[204:205]
	v_fma_f64 v[204:205], v[152:153], s[18:19], v[202:203]
	v_add_f64 v[194:195], v[206:207], v[194:195]
	v_mul_f64 v[206:207], v[186:187], s[38:39]
	s_delay_alu instid0(VALU_DEP_4) | instskip(NEXT) | instid1(VALU_DEP_2)
	v_add_f64 v[52:53], v[198:199], v[52:53]
	v_fma_f64 v[208:209], v[162:163], s[18:19], v[206:207]
	v_fma_f64 v[198:199], v[162:163], s[18:19], -v[206:207]
	s_delay_alu instid0(VALU_DEP_2) | instskip(SKIP_1) | instid1(VALU_DEP_3)
	v_add_f64 v[200:201], v[208:209], v[200:201]
	v_mul_f64 v[208:209], v[188:189], s[36:37]
	v_add_f64 v[196:197], v[198:199], v[196:197]
	s_delay_alu instid0(VALU_DEP_2) | instskip(SKIP_1) | instid1(VALU_DEP_2)
	v_fma_f64 v[214:215], v[168:169], s[14:15], -v[208:209]
	v_fma_f64 v[198:199], v[168:169], s[14:15], v[208:209]
	v_add_f64 v[194:195], v[214:215], v[194:195]
	v_mul_f64 v[214:215], v[190:191], s[36:37]
	s_delay_alu instid0(VALU_DEP_3) | instskip(NEXT) | instid1(VALU_DEP_2)
	v_add_f64 v[52:53], v[198:199], v[52:53]
	v_fma_f64 v[216:217], v[170:171], s[14:15], v[214:215]
	v_fma_f64 v[198:199], v[170:171], s[14:15], -v[214:215]
	s_delay_alu instid0(VALU_DEP_2) | instskip(SKIP_1) | instid1(VALU_DEP_3)
	v_add_f64 v[200:201], v[216:217], v[200:201]
	v_mul_f64 v[216:217], v[192:193], s[30:31]
	v_add_f64 v[196:197], v[198:199], v[196:197]
	s_delay_alu instid0(VALU_DEP_2) | instskip(SKIP_1) | instid1(VALU_DEP_2)
	v_fma_f64 v[218:219], v[176:177], s[0:1], -v[216:217]
	v_fma_f64 v[198:199], v[176:177], s[0:1], v[216:217]
	v_add_f64 v[220:221], v[218:219], v[194:195]
	v_mul_f64 v[194:195], v[2:3], s[30:31]
	s_delay_alu instid0(VALU_DEP_3) | instskip(SKIP_1) | instid1(VALU_DEP_3)
	v_add_f64 v[198:199], v[198:199], v[52:53]
	v_mul_f64 v[52:53], v[0:1], s[20:21]
	v_fma_f64 v[218:219], v[178:179], s[0:1], v[194:195]
	v_fma_f64 v[194:195], v[178:179], s[0:1], -v[194:195]
	s_delay_alu instid0(VALU_DEP_2) | instskip(NEXT) | instid1(VALU_DEP_2)
	v_add_f64 v[222:223], v[218:219], v[200:201]
	v_add_f64 v[200:201], v[194:195], v[196:197]
	v_fma_f64 v[194:195], v[126:127], s[14:15], -v[52:53]
	v_mul_f64 v[196:197], v[4:5], s[38:39]
	v_fma_f64 v[52:53], v[126:127], s[14:15], v[52:53]
	s_clause 0x1
	scratch_store_b128 off, v[220:223], off offset:20
	scratch_store_b128 off, v[198:201], off offset:84
	v_add_f64 v[194:195], v[180:181], v[194:195]
	v_fma_f64 v[198:199], v[130:131], s[18:19], -v[196:197]
	v_add_f64 v[52:53], v[180:181], v[52:53]
	v_fma_f64 v[196:197], v[130:131], s[18:19], v[196:197]
	s_delay_alu instid0(VALU_DEP_3) | instskip(SKIP_1) | instid1(VALU_DEP_3)
	v_add_f64 v[194:195], v[198:199], v[194:195]
	v_mul_f64 v[198:199], v[6:7], s[20:21]
	v_add_f64 v[52:53], v[196:197], v[52:53]
	s_delay_alu instid0(VALU_DEP_2)
	v_fma_f64 v[200:201], v[154:155], s[14:15], v[198:199]
	v_fma_f64 v[196:197], v[154:155], s[14:15], -v[198:199]
	v_fma_f64 v[198:199], v[152:153], s[18:19], -v[202:203]
	v_mul_f64 v[202:203], v[54:55], s[36:37]
	v_mul_f64 v[54:55], v[54:55], s[30:31]
	v_add_f64 v[200:201], v[182:183], v[200:201]
	v_add_f64 v[196:197], v[182:183], v[196:197]
	s_delay_alu instid0(VALU_DEP_2) | instskip(SKIP_1) | instid1(VALU_DEP_3)
	v_add_f64 v[200:201], v[204:205], v[200:201]
	v_mul_f64 v[204:205], v[184:185], s[34:35]
	v_add_f64 v[196:197], v[198:199], v[196:197]
	s_delay_alu instid0(VALU_DEP_2) | instskip(SKIP_2) | instid1(VALU_DEP_3)
	v_fma_f64 v[206:207], v[160:161], s[12:13], -v[204:205]
	v_fma_f64 v[198:199], v[160:161], s[12:13], v[204:205]
	v_fma_f64 v[204:205], v[152:153], s[14:15], v[202:203]
	v_add_f64 v[194:195], v[206:207], v[194:195]
	v_mul_f64 v[206:207], v[186:187], s[34:35]
	s_delay_alu instid0(VALU_DEP_4) | instskip(NEXT) | instid1(VALU_DEP_2)
	v_add_f64 v[52:53], v[198:199], v[52:53]
	v_fma_f64 v[208:209], v[162:163], s[12:13], v[206:207]
	v_fma_f64 v[198:199], v[162:163], s[12:13], -v[206:207]
	s_delay_alu instid0(VALU_DEP_2) | instskip(SKIP_1) | instid1(VALU_DEP_3)
	v_add_f64 v[200:201], v[208:209], v[200:201]
	v_mul_f64 v[208:209], v[188:189], s[22:23]
	v_add_f64 v[196:197], v[198:199], v[196:197]
	s_delay_alu instid0(VALU_DEP_2) | instskip(SKIP_1) | instid1(VALU_DEP_2)
	v_fma_f64 v[214:215], v[168:169], s[0:1], -v[208:209]
	v_fma_f64 v[198:199], v[168:169], s[0:1], v[208:209]
	v_add_f64 v[194:195], v[214:215], v[194:195]
	v_mul_f64 v[214:215], v[190:191], s[22:23]
	s_delay_alu instid0(VALU_DEP_3) | instskip(NEXT) | instid1(VALU_DEP_2)
	v_add_f64 v[52:53], v[198:199], v[52:53]
	v_fma_f64 v[216:217], v[170:171], s[0:1], v[214:215]
	v_fma_f64 v[198:199], v[170:171], s[0:1], -v[214:215]
	s_delay_alu instid0(VALU_DEP_2) | instskip(SKIP_1) | instid1(VALU_DEP_3)
	v_add_f64 v[200:201], v[216:217], v[200:201]
	v_mul_f64 v[216:217], v[192:193], s[24:25]
	v_add_f64 v[196:197], v[198:199], v[196:197]
	s_delay_alu instid0(VALU_DEP_2) | instskip(SKIP_1) | instid1(VALU_DEP_2)
	v_fma_f64 v[218:219], v[176:177], s[16:17], -v[216:217]
	v_fma_f64 v[198:199], v[176:177], s[16:17], v[216:217]
	v_add_f64 v[220:221], v[218:219], v[194:195]
	v_mul_f64 v[194:195], v[2:3], s[24:25]
	s_delay_alu instid0(VALU_DEP_3) | instskip(SKIP_2) | instid1(VALU_DEP_4)
	v_add_f64 v[198:199], v[198:199], v[52:53]
	v_mul_f64 v[52:53], v[0:1], s[24:25]
	v_mul_f64 v[0:1], v[0:1], s[26:27]
	v_fma_f64 v[218:219], v[178:179], s[16:17], v[194:195]
	v_fma_f64 v[194:195], v[178:179], s[16:17], -v[194:195]
	s_delay_alu instid0(VALU_DEP_2) | instskip(NEXT) | instid1(VALU_DEP_2)
	v_add_f64 v[222:223], v[218:219], v[200:201]
	v_add_f64 v[200:201], v[194:195], v[196:197]
	v_fma_f64 v[194:195], v[126:127], s[16:17], -v[52:53]
	v_mul_f64 v[196:197], v[4:5], s[36:37]
	v_fma_f64 v[52:53], v[126:127], s[16:17], v[52:53]
	v_mul_f64 v[4:5], v[4:5], s[30:31]
	s_clause 0x1
	scratch_store_b128 off, v[220:223], off offset:4
	scratch_store_b128 off, v[198:201], off offset:36
	v_add_f64 v[194:195], v[180:181], v[194:195]
	v_fma_f64 v[198:199], v[130:131], s[14:15], -v[196:197]
	v_add_f64 v[52:53], v[180:181], v[52:53]
	v_fma_f64 v[196:197], v[130:131], s[14:15], v[196:197]
	s_delay_alu instid0(VALU_DEP_3) | instskip(SKIP_1) | instid1(VALU_DEP_3)
	v_add_f64 v[194:195], v[198:199], v[194:195]
	v_mul_f64 v[198:199], v[6:7], s[24:25]
	v_add_f64 v[52:53], v[196:197], v[52:53]
	v_mul_f64 v[6:7], v[6:7], s[26:27]
	s_delay_alu instid0(VALU_DEP_3) | instskip(SKIP_2) | instid1(VALU_DEP_3)
	v_fma_f64 v[200:201], v[154:155], s[16:17], v[198:199]
	v_fma_f64 v[196:197], v[154:155], s[16:17], -v[198:199]
	v_fma_f64 v[198:199], v[152:153], s[14:15], -v[202:203]
	v_add_f64 v[200:201], v[182:183], v[200:201]
	s_delay_alu instid0(VALU_DEP_3) | instskip(NEXT) | instid1(VALU_DEP_2)
	v_add_f64 v[196:197], v[182:183], v[196:197]
	v_add_f64 v[200:201], v[204:205], v[200:201]
	v_mul_f64 v[204:205], v[184:185], s[22:23]
	s_delay_alu instid0(VALU_DEP_3) | instskip(SKIP_1) | instid1(VALU_DEP_3)
	v_add_f64 v[196:197], v[198:199], v[196:197]
	v_mul_f64 v[184:185], v[184:185], s[24:25]
	v_fma_f64 v[206:207], v[160:161], s[0:1], -v[204:205]
	v_fma_f64 v[198:199], v[160:161], s[0:1], v[204:205]
	s_delay_alu instid0(VALU_DEP_2) | instskip(SKIP_1) | instid1(VALU_DEP_3)
	v_add_f64 v[194:195], v[206:207], v[194:195]
	v_mul_f64 v[206:207], v[186:187], s[22:23]
	v_add_f64 v[52:53], v[198:199], v[52:53]
	v_mul_f64 v[186:187], v[186:187], s[24:25]
	s_delay_alu instid0(VALU_DEP_3) | instskip(SKIP_1) | instid1(VALU_DEP_2)
	v_fma_f64 v[208:209], v[162:163], s[0:1], v[206:207]
	v_fma_f64 v[198:199], v[162:163], s[0:1], -v[206:207]
	v_add_f64 v[200:201], v[208:209], v[200:201]
	v_mul_f64 v[208:209], v[188:189], s[26:27]
	s_delay_alu instid0(VALU_DEP_3) | instskip(SKIP_1) | instid1(VALU_DEP_3)
	v_add_f64 v[196:197], v[198:199], v[196:197]
	v_mul_f64 v[188:189], v[188:189], s[34:35]
	v_fma_f64 v[214:215], v[168:169], s[18:19], -v[208:209]
	v_fma_f64 v[198:199], v[168:169], s[18:19], v[208:209]
	s_delay_alu instid0(VALU_DEP_2) | instskip(SKIP_1) | instid1(VALU_DEP_3)
	v_add_f64 v[194:195], v[214:215], v[194:195]
	v_mul_f64 v[214:215], v[190:191], s[26:27]
	v_add_f64 v[52:53], v[198:199], v[52:53]
	v_mul_f64 v[190:191], v[190:191], s[34:35]
	s_delay_alu instid0(VALU_DEP_3) | instskip(SKIP_1) | instid1(VALU_DEP_2)
	v_fma_f64 v[216:217], v[170:171], s[18:19], v[214:215]
	v_fma_f64 v[198:199], v[170:171], s[18:19], -v[214:215]
	v_add_f64 v[200:201], v[216:217], v[200:201]
	v_mul_f64 v[216:217], v[192:193], s[34:35]
	s_delay_alu instid0(VALU_DEP_3) | instskip(SKIP_1) | instid1(VALU_DEP_3)
	v_add_f64 v[196:197], v[198:199], v[196:197]
	v_mul_f64 v[192:193], v[192:193], s[20:21]
	v_fma_f64 v[218:219], v[176:177], s[12:13], -v[216:217]
	v_fma_f64 v[198:199], v[176:177], s[12:13], v[216:217]
	s_delay_alu instid0(VALU_DEP_2) | instskip(SKIP_1) | instid1(VALU_DEP_3)
	v_add_f64 v[220:221], v[218:219], v[194:195]
	v_mul_f64 v[194:195], v[2:3], s[34:35]
	v_add_f64 v[198:199], v[198:199], v[52:53]
	v_fma_f64 v[52:53], v[126:127], s[18:19], -v[0:1]
	v_fma_f64 v[0:1], v[126:127], s[18:19], v[0:1]
	v_mul_f64 v[2:3], v[2:3], s[20:21]
	v_fma_f64 v[218:219], v[178:179], s[12:13], v[194:195]
	v_fma_f64 v[194:195], v[178:179], s[12:13], -v[194:195]
	v_add_f64 v[52:53], v[180:181], v[52:53]
	v_add_f64 v[0:1], v[180:181], v[0:1]
	s_delay_alu instid0(VALU_DEP_4) | instskip(NEXT) | instid1(VALU_DEP_4)
	v_add_f64 v[222:223], v[218:219], v[200:201]
	v_add_f64 v[200:201], v[194:195], v[196:197]
	v_fma_f64 v[194:195], v[130:131], s[0:1], -v[4:5]
	v_fma_f64 v[4:5], v[130:131], s[0:1], v[4:5]
	v_fma_f64 v[196:197], v[152:153], s[0:1], v[54:55]
	s_clause 0x1
	scratch_store_b128 off, v[220:223], off offset:52
	scratch_store_b128 off, v[198:201], off offset:68
	v_add_f64 v[52:53], v[194:195], v[52:53]
	v_fma_f64 v[194:195], v[154:155], s[18:19], v[6:7]
	v_add_f64 v[0:1], v[4:5], v[0:1]
	v_fma_f64 v[4:5], v[154:155], s[18:19], -v[6:7]
	v_fma_f64 v[6:7], v[152:153], s[0:1], -v[54:55]
	s_delay_alu instid0(VALU_DEP_4) | instskip(NEXT) | instid1(VALU_DEP_3)
	v_add_f64 v[194:195], v[182:183], v[194:195]
	v_add_f64 v[4:5], v[182:183], v[4:5]
	s_delay_alu instid0(VALU_DEP_2) | instskip(SKIP_1) | instid1(VALU_DEP_3)
	v_add_f64 v[194:195], v[196:197], v[194:195]
	v_fma_f64 v[196:197], v[160:161], s[16:17], -v[184:185]
	v_add_f64 v[4:5], v[6:7], v[4:5]
	v_fma_f64 v[6:7], v[160:161], s[16:17], v[184:185]
	s_delay_alu instid0(VALU_DEP_3) | instskip(SKIP_1) | instid1(VALU_DEP_3)
	v_add_f64 v[52:53], v[196:197], v[52:53]
	v_fma_f64 v[196:197], v[162:163], s[16:17], v[186:187]
	v_add_f64 v[0:1], v[6:7], v[0:1]
	v_fma_f64 v[6:7], v[162:163], s[16:17], -v[186:187]
	s_delay_alu instid0(VALU_DEP_3) | instskip(SKIP_1) | instid1(VALU_DEP_3)
	v_add_f64 v[194:195], v[196:197], v[194:195]
	v_fma_f64 v[196:197], v[168:169], s[12:13], -v[188:189]
	v_add_f64 v[4:5], v[6:7], v[4:5]
	v_fma_f64 v[6:7], v[168:169], s[12:13], v[188:189]
	s_delay_alu instid0(VALU_DEP_3) | instskip(SKIP_1) | instid1(VALU_DEP_3)
	v_add_f64 v[52:53], v[196:197], v[52:53]
	v_fma_f64 v[196:197], v[170:171], s[12:13], v[190:191]
	v_add_f64 v[0:1], v[6:7], v[0:1]
	v_fma_f64 v[6:7], v[170:171], s[12:13], -v[190:191]
	s_delay_alu instid0(VALU_DEP_3) | instskip(SKIP_1) | instid1(VALU_DEP_3)
	v_add_f64 v[194:195], v[196:197], v[194:195]
	v_fma_f64 v[196:197], v[176:177], s[14:15], -v[192:193]
	v_add_f64 v[4:5], v[6:7], v[4:5]
	v_fma_f64 v[6:7], v[176:177], s[14:15], v[192:193]
	s_delay_alu instid0(VALU_DEP_3) | instskip(SKIP_2) | instid1(VALU_DEP_4)
	v_add_f64 v[196:197], v[196:197], v[52:53]
	v_fma_f64 v[52:53], v[178:179], s[14:15], v[2:3]
	v_fma_f64 v[2:3], v[178:179], s[14:15], -v[2:3]
	v_add_f64 v[0:1], v[6:7], v[0:1]
	s_delay_alu instid0(VALU_DEP_3) | instskip(NEXT) | instid1(VALU_DEP_3)
	v_add_f64 v[198:199], v[52:53], v[194:195]
	v_add_f64 v[2:3], v[2:3], v[4:5]
	s_clause 0x1
	scratch_store_b128 off, v[196:199], off offset:116
	scratch_store_b128 off, v[0:3], off offset:100
	scratch_load_b32 v0, off, off offset:784 ; 4-byte Folded Reload
	s_waitcnt vmcnt(0)
	s_waitcnt_vscnt null, 0x0
	s_barrier
	buffer_gl0_inv
	v_and_b32_e32 v0, 0xffff, v0
	s_delay_alu instid0(VALU_DEP_1) | instskip(NEXT) | instid1(VALU_DEP_1)
	v_mul_u32_u24_e32 v0, 0x4d, v0
	v_add_lshl_u32 v0, v0, v227, 4
	ds_store_b128 v0, v[144:147]
	ds_store_b128 v0, v[16:19] offset:112
	ds_store_b128 v0, v[24:27] offset:224
	;; [unrolled: 1-line block ×9, first 2 shown]
	scratch_load_b128 v[1:4], off, off offset:948 ; 16-byte Folded Reload
	scratch_store_b32 off, v0, off offset:2116 ; 4-byte Folded Spill
	s_waitcnt vmcnt(0)
	ds_store_b128 v0, v[1:4] offset:1120
	s_clause 0x1
	scratch_load_b32 v0, off, off offset:820
	scratch_load_b32 v1, off, off offset:836
	s_waitcnt vmcnt(1)
	v_and_b32_e32 v0, 0xffff, v0
	s_delay_alu instid0(VALU_DEP_1) | instskip(SKIP_1) | instid1(VALU_DEP_1)
	v_mul_u32_u24_e32 v0, 0x4d, v0
	s_waitcnt vmcnt(0)
	v_add_lshl_u32 v227, v0, v1, 4
	ds_store_b128 v227, v[84:87]
	ds_store_b128 v227, v[56:59] offset:112
	ds_store_b128 v227, v[64:67] offset:224
	;; [unrolled: 1-line block ×10, first 2 shown]
	s_clause 0x1
	scratch_load_b32 v0, off, off offset:852
	scratch_load_b32 v1, off, off offset:868
	s_waitcnt vmcnt(1)
	v_and_b32_e32 v0, 0xffff, v0
	s_delay_alu instid0(VALU_DEP_1) | instskip(SKIP_1) | instid1(VALU_DEP_1)
	v_mul_u32_u24_e32 v0, 0x4d, v0
	s_waitcnt vmcnt(0)
	v_add_lshl_u32 v0, v0, v1, 4
	ds_store_b128 v0, v[136:139]
	ds_store_b128 v0, v[88:91] offset:112
	ds_store_b128 v0, v[96:99] offset:224
	ds_store_b128 v0, v[104:107] offset:336
	ds_store_b128 v0, v[108:111] offset:448
	ds_store_b128 v0, v[116:119] offset:560
	ds_store_b128 v0, v[120:123] offset:672
	ds_store_b128 v0, v[112:115] offset:784
	ds_store_b128 v0, v[100:103] offset:896
	ds_store_b128 v0, v[92:95] offset:1008
	scratch_store_b32 off, v0, off offset:2120 ; 4-byte Folded Spill
	ds_store_b128 v0, v[8:11] offset:1120
	scratch_load_b32 v0, off, off offset:884 ; 4-byte Folded Reload
	s_waitcnt vmcnt(0)
	v_and_b32_e32 v0, 0xffff, v0
	scratch_store_b32 off, v0, off offset:784 ; 4-byte Folded Spill
	s_and_saveexec_b32 s20, vcc_lo
	s_cbranch_execz .LBB0_5
; %bb.4:
	v_add_f64 v[0:1], v[182:183], v[240:241]
	v_mul_f64 v[6:7], v[126:127], s[0:1]
	v_mul_f64 v[10:11], v[130:131], s[12:13]
	;; [unrolled: 1-line block ×3, first 2 shown]
	v_add_f64 v[2:3], v[180:181], v[224:225]
	v_mul_f64 v[4:5], v[154:155], s[0:1]
	v_mul_f64 v[8:9], v[152:153], s[12:13]
	;; [unrolled: 1-line block ×4, first 2 shown]
	v_add_f64 v[0:1], v[0:1], v[236:237]
	v_add_f64 v[6:7], v[6:7], -v[124:125]
	v_add_f64 v[10:11], v[10:11], -v[128:129]
	;; [unrolled: 1-line block ×3, first 2 shown]
	v_add_f64 v[2:3], v[2:3], v[230:231]
	v_add_f64 v[4:5], v[142:143], v[4:5]
	;; [unrolled: 1-line block ×9, first 2 shown]
	s_delay_alu instid0(VALU_DEP_4) | instskip(NEXT) | instid1(VALU_DEP_4)
	v_add_f64 v[0:1], v[0:1], v[232:233]
	v_add_f64 v[6:7], v[10:11], v[6:7]
	v_mul_f64 v[10:11], v[178:179], s[18:19]
	v_add_f64 v[2:3], v[2:3], v[228:229]
	v_add_f64 v[4:5], v[8:9], v[4:5]
	v_mul_f64 v[8:9], v[176:177], s[18:19]
	v_add_f64 v[0:1], v[0:1], v[12:13]
	v_mul_f64 v[12:13], v[160:161], s[14:15]
	v_add_f64 v[10:11], v[174:175], v[10:11]
	v_add_f64 v[2:3], v[2:3], v[254:255]
	;; [unrolled: 1-line block ×3, first 2 shown]
	v_add_f64 v[8:9], v[8:9], -v[172:173]
	v_add_f64 v[0:1], v[0:1], v[252:253]
	v_add_f64 v[12:13], v[12:13], -v[156:157]
	v_add_f64 v[2:3], v[2:3], v[250:251]
	v_add_f64 v[4:5], v[18:19], v[4:5]
	s_delay_alu instid0(VALU_DEP_4) | instskip(NEXT) | instid1(VALU_DEP_4)
	v_add_f64 v[0:1], v[0:1], v[248:249]
	v_add_f64 v[6:7], v[12:13], v[6:7]
	s_delay_alu instid0(VALU_DEP_4) | instskip(NEXT) | instid1(VALU_DEP_3)
	v_add_f64 v[2:3], v[2:3], v[246:247]
	v_add_f64 v[0:1], v[0:1], v[244:245]
	s_delay_alu instid0(VALU_DEP_3)
	v_add_f64 v[12:13], v[16:17], v[6:7]
	scratch_load_b64 v[6:7], off, off offset:196 ; 8-byte Folded Reload
	v_add_f64 v[2:3], v[2:3], v[242:243]
	s_waitcnt vmcnt(0)
	v_add_f64 v[0:1], v[0:1], v[6:7]
	scratch_load_b64 v[6:7], off, off offset:164 ; 8-byte Folded Reload
	s_waitcnt vmcnt(0)
	v_add_f64 v[2:3], v[2:3], v[6:7]
	v_add_f64 v[6:7], v[10:11], v[4:5]
	;; [unrolled: 1-line block ×3, first 2 shown]
	s_clause 0x1
	scratch_load_b64 v[8:9], off, off offset:180
	scratch_load_b128 v[12:15], off, off offset:20
	s_waitcnt vmcnt(1)
	v_add_f64 v[10:11], v[0:1], v[8:9]
	scratch_load_b64 v[0:1], off, off offset:148 ; 8-byte Folded Reload
	s_waitcnt vmcnt(0)
	v_add_f64 v[8:9], v[2:3], v[0:1]
	s_clause 0x1
	scratch_load_b32 v0, off, off offset:784
	scratch_load_b32 v1, off, off offset:780
	s_waitcnt vmcnt(1)
	v_mul_u32_u24_e32 v0, 0x4d, v0
	s_waitcnt vmcnt(0)
	s_delay_alu instid0(VALU_DEP_1)
	v_add_lshl_u32 v0, v0, v1, 4
	ds_store_b128 v0, v[12:15] offset:224
	scratch_load_b128 v[12:15], off, off offset:4 ; 16-byte Folded Reload
	s_waitcnt vmcnt(0)
	ds_store_b128 v0, v[12:15] offset:336
	scratch_load_b128 v[12:15], off, off offset:52 ; 16-byte Folded Reload
	s_waitcnt vmcnt(0)
	;; [unrolled: 3-line block ×7, first 2 shown]
	ds_store_b128 v0, v[12:15] offset:1008
	ds_store_b128 v0, v[4:7] offset:112
	ds_store_b128 v0, v[8:11]
	scratch_load_b128 v[1:4], off, off offset:132 ; 16-byte Folded Reload
	s_waitcnt vmcnt(0)
	ds_store_b128 v0, v[1:4] offset:1120
.LBB0_5:
	s_or_b32 exec_lo, exec_lo, s20
	scratch_load_b32 v200, off, off         ; 4-byte Folded Reload
	s_waitcnt vmcnt(0) lgkmcnt(0)
	s_waitcnt_vscnt null, 0x0
	s_barrier
	buffer_gl0_inv
	s_mov_b32 s16, 0x134454ff
	s_mov_b32 s17, 0x3fee6f0e
	;; [unrolled: 1-line block ×14, first 2 shown]
	v_lshlrev_b32_e32 v138, 6, v200
	v_add_co_u32 v0, s1, 0xffffffea, v200
	v_cmp_gt_u16_e64 s0, 22, v200
	v_add_co_ci_u32_e64 v1, null, 0, -1, s1
	s_clause 0x1
	global_load_b128 v[46:49], v138, s[10:11] offset:1120
	global_load_b128 v[50:53], v138, s[10:11] offset:1136
	scratch_load_b32 v173, off, off offset:1524 ; 4-byte Folded Reload
	s_clause 0x1
	global_load_b128 v[58:61], v138, s[10:11] offset:1152
	global_load_b128 v[54:57], v138, s[10:11] offset:1168
	v_add_co_u32 v137, null, 0x113, v200
	v_add_co_u32 v176, null, 0x14a, v200
	s_waitcnt vmcnt(2)
	v_cndmask_b32_e64 v84, v0, v173, s0
	scratch_load_b32 v0, off, off offset:788 ; 4-byte Folded Reload
	s_waitcnt vmcnt(0)
	v_cndmask_b32_e64 v85, v1, v0, s0
	s_delay_alu instid0(VALU_DEP_1) | instskip(NEXT) | instid1(VALU_DEP_1)
	v_lshlrev_b64 v[0:1], 6, v[84:85]
	v_add_co_u32 v0, s0, s10, v0
	s_delay_alu instid0(VALU_DEP_1)
	v_add_co_ci_u32_e64 v1, s0, s11, v1, s0
	s_clause 0x2
	global_load_b128 v[89:92], v[0:1], off offset:1120
	global_load_b128 v[85:88], v[0:1], off offset:1136
	;; [unrolled: 1-line block ×3, first 2 shown]
	s_clause 0x1
	scratch_load_b32 v2, off, off offset:804
	scratch_load_b32 v174, off, off offset:1620
	global_load_b128 v[76:79], v[0:1], off offset:1168
	s_waitcnt vmcnt(2)
	v_mul_lo_u16 v2, 0xd5, v2
	s_delay_alu instid0(VALU_DEP_1) | instskip(NEXT) | instid1(VALU_DEP_1)
	v_lshrrev_b16 v139, 14, v2
	v_mul_lo_u16 v0, 0x4d, v139
	s_waitcnt vmcnt(1)
	s_delay_alu instid0(VALU_DEP_1) | instskip(NEXT) | instid1(VALU_DEP_1)
	v_sub_nc_u16 v0, v174, v0
	v_and_b32_e32 v140, 0xff, v0
	s_delay_alu instid0(VALU_DEP_1)
	v_lshlrev_b32_e32 v64, 6, v140
	s_clause 0x2
	global_load_b128 v[80:83], v64, s[10:11] offset:1120
	global_load_b128 v[72:75], v64, s[10:11] offset:1136
	;; [unrolled: 1-line block ×3, first 2 shown]
	ds_load_b128 v[4:7], v226 offset:6160
	ds_load_b128 v[8:11], v226 offset:12320
	;; [unrolled: 1-line block ×6, first 2 shown]
	s_clause 0x1
	scratch_store_b128 off, v[46:49], off offset:164
	scratch_store_b128 off, v[50:53], off offset:148
	ds_load_b128 v[28:31], v226 offset:19360
	s_clause 0x2
	scratch_store_b128 off, v[65:68], off offset:820
	scratch_store_b128 off, v[58:61], off offset:196
	;; [unrolled: 1-line block ×3, first 2 shown]
	s_waitcnt vmcnt(3)
	s_clause 0x2
	scratch_store_b128 off, v[76:79], off offset:804
	scratch_store_b128 off, v[89:92], off offset:868
	;; [unrolled: 1-line block ×3, first 2 shown]
	s_clause 0x1
	scratch_load_b32 v175, off, off offset:1764
	scratch_load_b32 v177, off, off offset:1956
	s_waitcnt lgkmcnt(6)
	v_mul_f64 v[0:1], v[6:7], v[48:49]
	v_mul_f64 v[2:3], v[4:5], v[48:49]
	s_waitcnt lgkmcnt(4)
	v_mul_f64 v[36:37], v[14:15], v[60:61]
	s_waitcnt lgkmcnt(3)
	v_mul_f64 v[40:41], v[18:19], v[56:57]
	v_mul_f64 v[42:43], v[16:17], v[56:57]
	s_waitcnt lgkmcnt(2)
	v_mul_f64 v[44:45], v[22:23], v[91:92]
	v_mul_f64 v[32:33], v[10:11], v[52:53]
	;; [unrolled: 1-line block ×4, first 2 shown]
	s_waitcnt lgkmcnt(1)
	v_mul_f64 v[48:49], v[26:27], v[87:88]
	v_fma_f64 v[0:1], v[4:5], v[46:47], -v[0:1]
	v_fma_f64 v[2:3], v[6:7], v[46:47], v[2:3]
	v_mul_f64 v[46:47], v[20:21], v[91:92]
	ds_load_b128 v[4:7], v226 offset:25520
	v_fma_f64 v[36:37], v[12:13], v[58:59], -v[36:37]
	s_waitcnt lgkmcnt(1)
	v_mul_f64 v[12:13], v[30:31], v[67:68]
	v_fma_f64 v[16:17], v[16:17], v[54:55], -v[40:41]
	v_fma_f64 v[18:19], v[18:19], v[54:55], v[42:43]
	v_fma_f64 v[40:41], v[20:21], v[89:90], -v[44:45]
	v_fma_f64 v[32:33], v[8:9], v[50:51], -v[32:33]
	v_fma_f64 v[34:35], v[10:11], v[50:51], v[34:35]
	ds_load_b128 v[8:11], v226 offset:7920
	v_fma_f64 v[38:39], v[14:15], v[58:59], v[38:39]
	v_mul_f64 v[14:15], v[28:29], v[67:68]
	v_fma_f64 v[44:45], v[24:25], v[85:86], -v[48:49]
	v_mul_f64 v[50:51], v[24:25], v[87:88]
	s_waitcnt lgkmcnt(1)
	v_mul_f64 v[20:21], v[6:7], v[78:79]
	v_fma_f64 v[42:43], v[22:23], v[89:90], v[46:47]
	v_mul_f64 v[22:23], v[4:5], v[78:79]
	v_fma_f64 v[48:49], v[28:29], v[65:66], -v[12:13]
	v_add_f64 v[28:29], v[0:1], -v[16:17]
	v_add_f64 v[151:152], v[44:45], -v[40:41]
	v_fma_f64 v[46:47], v[26:27], v[85:86], v[50:51]
	v_fma_f64 v[50:51], v[30:31], v[65:66], v[14:15]
	v_add_f64 v[26:27], v[34:35], -v[38:39]
	v_add_f64 v[30:31], v[32:33], -v[36:37]
	v_fma_f64 v[68:69], v[4:5], v[76:77], -v[20:21]
	v_fma_f64 v[70:71], v[6:7], v[76:77], v[22:23]
	ds_load_b128 v[4:7], v226 offset:14080
	v_add_f64 v[149:150], v[44:45], -v[48:49]
	v_add_f64 v[147:148], v[40:41], -v[68:69]
	s_waitcnt vmcnt(4) lgkmcnt(1)
	v_mul_f64 v[12:13], v[8:9], v[82:83]
	v_mul_f64 v[24:25], v[10:11], v[82:83]
	s_waitcnt vmcnt(3) lgkmcnt(0)
	v_mul_f64 v[14:15], v[6:7], v[74:75]
	s_clause 0x1
	scratch_store_b128 off, v[72:75], off offset:788
	scratch_store_b128 off, v[80:83], off offset:836
	v_fma_f64 v[52:53], v[10:11], v[80:81], v[12:13]
	global_load_b128 v[10:13], v64, s[10:11] offset:1168
	v_fma_f64 v[54:55], v[8:9], v[80:81], -v[24:25]
	v_mul_f64 v[8:9], v[4:5], v[74:75]
	v_fma_f64 v[62:63], v[4:5], v[72:73], -v[14:15]
	s_waitcnt vmcnt(3)
	scratch_store_b128 off, v[93:96], off offset:884 ; 16-byte Folded Spill
	v_add_f64 v[24:25], v[2:3], -v[18:19]
	v_fma_f64 v[56:57], v[6:7], v[72:73], v[8:9]
	ds_load_b128 v[4:7], v226 offset:20240
	v_add_f64 v[155:156], v[62:63], -v[54:55]
	s_waitcnt lgkmcnt(0)
	v_mul_f64 v[8:9], v[6:7], v[95:96]
	s_delay_alu instid0(VALU_DEP_1) | instskip(SKIP_1) | instid1(VALU_DEP_2)
	v_fma_f64 v[60:61], v[4:5], v[93:94], -v[8:9]
	v_mul_f64 v[4:5], v[4:5], v[95:96]
	v_add_f64 v[153:154], v[62:63], -v[60:61]
	s_delay_alu instid0(VALU_DEP_2)
	v_fma_f64 v[58:59], v[6:7], v[93:94], v[4:5]
	ds_load_b128 v[4:7], v226 offset:26400
	s_waitcnt vmcnt(0)
	scratch_store_b128 off, v[10:13], off offset:900 ; 16-byte Folded Spill
	s_waitcnt lgkmcnt(0)
	v_mul_f64 v[8:9], v[6:7], v[12:13]
	s_delay_alu instid0(VALU_DEP_1) | instskip(SKIP_1) | instid1(VALU_DEP_1)
	v_fma_f64 v[64:65], v[4:5], v[10:11], -v[8:9]
	v_mul_f64 v[4:5], v[4:5], v[12:13]
	v_fma_f64 v[66:67], v[6:7], v[10:11], v[4:5]
	scratch_load_b32 v4, off, off offset:916 ; 4-byte Folded Reload
	s_waitcnt vmcnt(0)
	v_mul_lo_u16 v4, 0xd5, v4
	s_delay_alu instid0(VALU_DEP_1) | instskip(NEXT) | instid1(VALU_DEP_1)
	v_lshrrev_b16 v4, 14, v4
	v_mul_lo_u16 v4, 0x4d, v4
	s_delay_alu instid0(VALU_DEP_1) | instskip(NEXT) | instid1(VALU_DEP_1)
	v_sub_nc_u16 v4, v175, v4
	v_and_b32_e32 v142, 0xff, v4
	ds_load_b128 v[4:7], v226 offset:8800
	v_lshlrev_b32_e32 v10, 6, v142
	global_load_b128 v[11:14], v10, s[10:11] offset:1120
	s_waitcnt vmcnt(0) lgkmcnt(0)
	v_mul_f64 v[8:9], v[6:7], v[13:14]
	scratch_store_b128 off, v[11:14], off offset:916 ; 16-byte Folded Spill
	v_fma_f64 v[74:75], v[4:5], v[11:12], -v[8:9]
	v_mul_f64 v[4:5], v[4:5], v[13:14]
	s_delay_alu instid0(VALU_DEP_1)
	v_fma_f64 v[72:73], v[6:7], v[11:12], v[4:5]
	global_load_b128 v[11:14], v10, s[10:11] offset:1136
	ds_load_b128 v[4:7], v226 offset:14960
	s_waitcnt vmcnt(0) lgkmcnt(0)
	v_mul_f64 v[8:9], v[6:7], v[13:14]
	scratch_store_b128 off, v[11:14], off offset:932 ; 16-byte Folded Spill
	v_fma_f64 v[80:81], v[4:5], v[11:12], -v[8:9]
	v_mul_f64 v[4:5], v[4:5], v[13:14]
	s_delay_alu instid0(VALU_DEP_2) | instskip(NEXT) | instid1(VALU_DEP_2)
	v_add_f64 v[159:160], v[80:81], -v[74:75]
	v_fma_f64 v[76:77], v[6:7], v[11:12], v[4:5]
	global_load_b128 v[11:14], v10, s[10:11] offset:1152
	ds_load_b128 v[4:7], v226 offset:21120
	s_waitcnt vmcnt(0) lgkmcnt(0)
	v_mul_f64 v[8:9], v[6:7], v[13:14]
	scratch_store_b128 off, v[11:14], off offset:948 ; 16-byte Folded Spill
	v_fma_f64 v[82:83], v[4:5], v[11:12], -v[8:9]
	v_mul_f64 v[4:5], v[4:5], v[13:14]
	s_delay_alu instid0(VALU_DEP_2) | instskip(NEXT) | instid1(VALU_DEP_2)
	v_add_f64 v[157:158], v[80:81], -v[82:83]
	v_fma_f64 v[78:79], v[6:7], v[11:12], v[4:5]
	global_load_b128 v[10:13], v10, s[10:11] offset:1168
	ds_load_b128 v[4:7], v226 offset:27280
	s_waitcnt vmcnt(0) lgkmcnt(0)
	v_mul_f64 v[8:9], v[6:7], v[12:13]
	scratch_store_b128 off, v[10:13], off offset:964 ; 16-byte Folded Spill
	v_fma_f64 v[133:134], v[4:5], v[10:11], -v[8:9]
	v_mul_f64 v[4:5], v[4:5], v[12:13]
	s_delay_alu instid0(VALU_DEP_1) | instskip(SKIP_1) | instid1(VALU_DEP_1)
	v_fma_f64 v[135:136], v[6:7], v[10:11], v[4:5]
	v_and_b32_e32 v4, 0xffff, v177
	v_mul_u32_u24_e32 v4, 0x1a99, v4
	s_delay_alu instid0(VALU_DEP_1) | instskip(NEXT) | instid1(VALU_DEP_1)
	v_lshrrev_b32_e32 v141, 19, v4
	v_mul_lo_u16 v4, 0x4d, v141
	s_delay_alu instid0(VALU_DEP_1) | instskip(NEXT) | instid1(VALU_DEP_1)
	v_sub_nc_u16 v143, v177, v4
	v_lshlrev_b16 v4, 6, v143
	s_delay_alu instid0(VALU_DEP_1) | instskip(NEXT) | instid1(VALU_DEP_1)
	v_and_b32_e32 v4, 0xffff, v4
	v_add_co_u32 v8, s0, s10, v4
	s_delay_alu instid0(VALU_DEP_1)
	v_add_co_ci_u32_e64 v9, null, s11, 0, s0
	ds_load_b128 v[4:7], v226 offset:9680
	global_load_b128 v[12:15], v[8:9], off offset:1120
	s_waitcnt vmcnt(0) lgkmcnt(0)
	v_mul_f64 v[10:11], v[6:7], v[14:15]
	scratch_store_b128 off, v[12:15], off offset:980 ; 16-byte Folded Spill
	v_fma_f64 v[119:120], v[4:5], v[12:13], -v[10:11]
	v_mul_f64 v[4:5], v[4:5], v[14:15]
	s_delay_alu instid0(VALU_DEP_1)
	v_fma_f64 v[117:118], v[6:7], v[12:13], v[4:5]
	global_load_b128 v[12:15], v[8:9], off offset:1136
	ds_load_b128 v[4:7], v226 offset:15840
	s_waitcnt vmcnt(0) lgkmcnt(0)
	v_mul_f64 v[10:11], v[6:7], v[14:15]
	scratch_store_b128 off, v[12:15], off offset:996 ; 16-byte Folded Spill
	v_fma_f64 v[123:124], v[4:5], v[12:13], -v[10:11]
	v_mul_f64 v[4:5], v[4:5], v[14:15]
	s_delay_alu instid0(VALU_DEP_2) | instskip(NEXT) | instid1(VALU_DEP_2)
	v_add_f64 v[163:164], v[123:124], -v[119:120]
	v_fma_f64 v[121:122], v[6:7], v[12:13], v[4:5]
	global_load_b128 v[12:15], v[8:9], off offset:1152
	ds_load_b128 v[4:7], v226 offset:22000
	s_waitcnt vmcnt(0) lgkmcnt(0)
	v_mul_f64 v[10:11], v[6:7], v[14:15]
	scratch_store_b128 off, v[12:15], off offset:1012 ; 16-byte Folded Spill
	v_fma_f64 v[127:128], v[4:5], v[12:13], -v[10:11]
	v_mul_f64 v[4:5], v[4:5], v[14:15]
	s_delay_alu instid0(VALU_DEP_2) | instskip(NEXT) | instid1(VALU_DEP_2)
	v_add_f64 v[161:162], v[123:124], -v[127:128]
	v_fma_f64 v[125:126], v[6:7], v[12:13], v[4:5]
	global_load_b128 v[10:13], v[8:9], off offset:1168
	ds_load_b128 v[4:7], v226 offset:28160
	s_waitcnt vmcnt(0) lgkmcnt(0)
	v_mul_f64 v[8:9], v[6:7], v[12:13]
	scratch_store_b128 off, v[10:13], off offset:1028 ; 16-byte Folded Spill
	v_fma_f64 v[129:130], v[4:5], v[10:11], -v[8:9]
	v_mul_f64 v[4:5], v[4:5], v[12:13]
	s_delay_alu instid0(VALU_DEP_1) | instskip(SKIP_1) | instid1(VALU_DEP_1)
	v_fma_f64 v[131:132], v[6:7], v[10:11], v[4:5]
	v_and_b32_e32 v4, 0xffff, v137
	v_mul_u32_u24_e32 v4, 0x1a99, v4
	s_delay_alu instid0(VALU_DEP_1) | instskip(NEXT) | instid1(VALU_DEP_1)
	v_lshrrev_b32_e32 v144, 19, v4
	v_mul_lo_u16 v4, 0x4d, v144
	s_delay_alu instid0(VALU_DEP_1) | instskip(NEXT) | instid1(VALU_DEP_1)
	v_sub_nc_u16 v145, v137, v4
	v_lshlrev_b16 v4, 6, v145
	s_delay_alu instid0(VALU_DEP_1) | instskip(NEXT) | instid1(VALU_DEP_1)
	v_and_b32_e32 v4, 0xffff, v4
	v_add_co_u32 v8, s0, s10, v4
	s_delay_alu instid0(VALU_DEP_1)
	v_add_co_ci_u32_e64 v9, null, s11, 0, s0
	ds_load_b128 v[4:7], v226 offset:10560
	global_load_b128 v[12:15], v[8:9], off offset:1120
	s_waitcnt vmcnt(0) lgkmcnt(0)
	v_mul_f64 v[10:11], v[6:7], v[14:15]
	scratch_store_b128 off, v[12:15], off offset:1084 ; 16-byte Folded Spill
	v_fma_f64 v[103:104], v[4:5], v[12:13], -v[10:11]
	v_mul_f64 v[4:5], v[4:5], v[14:15]
	s_delay_alu instid0(VALU_DEP_1)
	v_fma_f64 v[101:102], v[6:7], v[12:13], v[4:5]
	global_load_b128 v[12:15], v[8:9], off offset:1136
	ds_load_b128 v[4:7], v226 offset:16720
	s_waitcnt vmcnt(0) lgkmcnt(0)
	v_mul_f64 v[10:11], v[6:7], v[14:15]
	scratch_store_b128 off, v[12:15], off offset:1100 ; 16-byte Folded Spill
	v_fma_f64 v[109:110], v[4:5], v[12:13], -v[10:11]
	v_mul_f64 v[4:5], v[4:5], v[14:15]
	s_delay_alu instid0(VALU_DEP_2) | instskip(NEXT) | instid1(VALU_DEP_2)
	v_add_f64 v[167:168], v[109:110], -v[103:104]
	v_fma_f64 v[105:106], v[6:7], v[12:13], v[4:5]
	global_load_b128 v[12:15], v[8:9], off offset:1152
	ds_load_b128 v[4:7], v226 offset:22880
	s_waitcnt vmcnt(0) lgkmcnt(0)
	v_mul_f64 v[10:11], v[6:7], v[14:15]
	scratch_store_b128 off, v[12:15], off offset:1116 ; 16-byte Folded Spill
	v_fma_f64 v[111:112], v[4:5], v[12:13], -v[10:11]
	v_mul_f64 v[4:5], v[4:5], v[14:15]
	s_delay_alu instid0(VALU_DEP_2) | instskip(NEXT) | instid1(VALU_DEP_2)
	v_add_f64 v[165:166], v[109:110], -v[111:112]
	v_fma_f64 v[107:108], v[6:7], v[12:13], v[4:5]
	global_load_b128 v[10:13], v[8:9], off offset:1168
	ds_load_b128 v[4:7], v226 offset:29040
	s_waitcnt vmcnt(0) lgkmcnt(0)
	v_mul_f64 v[8:9], v[6:7], v[12:13]
	scratch_store_b128 off, v[10:13], off offset:1132 ; 16-byte Folded Spill
	v_fma_f64 v[113:114], v[4:5], v[10:11], -v[8:9]
	v_mul_f64 v[4:5], v[4:5], v[12:13]
	s_delay_alu instid0(VALU_DEP_1) | instskip(SKIP_1) | instid1(VALU_DEP_1)
	v_fma_f64 v[115:116], v[6:7], v[10:11], v[4:5]
	v_and_b32_e32 v4, 0xffff, v176
	v_mul_u32_u24_e32 v4, 0x1a99, v4
	s_delay_alu instid0(VALU_DEP_1) | instskip(NEXT) | instid1(VALU_DEP_1)
	v_lshrrev_b32_e32 v4, 19, v4
	v_mul_lo_u16 v4, 0x4d, v4
	s_delay_alu instid0(VALU_DEP_1) | instskip(NEXT) | instid1(VALU_DEP_1)
	v_sub_nc_u16 v146, v176, v4
	v_lshlrev_b16 v4, 6, v146
	s_delay_alu instid0(VALU_DEP_1) | instskip(NEXT) | instid1(VALU_DEP_1)
	v_and_b32_e32 v4, 0xffff, v4
	v_add_co_u32 v8, s0, s10, v4
	s_delay_alu instid0(VALU_DEP_1)
	v_add_co_ci_u32_e64 v9, null, s11, 0, s0
	ds_load_b128 v[4:7], v226 offset:11440
	v_cmp_lt_u16_e64 s0, 21, v200
	global_load_b128 v[12:15], v[8:9], off offset:1120
	s_waitcnt vmcnt(0) lgkmcnt(0)
	v_mul_f64 v[10:11], v[6:7], v[14:15]
	scratch_store_b128 off, v[12:15], off offset:1164 ; 16-byte Folded Spill
	v_fma_f64 v[89:90], v[4:5], v[12:13], -v[10:11]
	v_mul_f64 v[4:5], v[4:5], v[14:15]
	s_delay_alu instid0(VALU_DEP_1)
	v_fma_f64 v[85:86], v[6:7], v[12:13], v[4:5]
	global_load_b128 v[12:15], v[8:9], off offset:1136
	ds_load_b128 v[4:7], v226 offset:17600
	s_waitcnt vmcnt(0) lgkmcnt(0)
	v_mul_f64 v[10:11], v[6:7], v[14:15]
	scratch_store_b128 off, v[12:15], off offset:1200 ; 16-byte Folded Spill
	v_fma_f64 v[93:94], v[4:5], v[12:13], -v[10:11]
	v_mul_f64 v[4:5], v[4:5], v[14:15]
	s_delay_alu instid0(VALU_DEP_1)
	v_fma_f64 v[87:88], v[6:7], v[12:13], v[4:5]
	global_load_b128 v[12:15], v[8:9], off offset:1152
	ds_load_b128 v[4:7], v226 offset:23760
	s_waitcnt vmcnt(0) lgkmcnt(0)
	v_mul_f64 v[10:11], v[6:7], v[14:15]
	scratch_store_b128 off, v[12:15], off offset:1216 ; 16-byte Folded Spill
	v_fma_f64 v[95:96], v[4:5], v[12:13], -v[10:11]
	v_mul_f64 v[4:5], v[4:5], v[14:15]
	s_delay_alu instid0(VALU_DEP_2) | instskip(NEXT) | instid1(VALU_DEP_2)
	v_add_f64 v[169:170], v[93:94], -v[95:96]
	v_fma_f64 v[91:92], v[6:7], v[12:13], v[4:5]
	global_load_b128 v[10:13], v[8:9], off offset:1168
	ds_load_b128 v[4:7], v226 offset:29920
	s_waitcnt vmcnt(0) lgkmcnt(0)
	v_mul_f64 v[8:9], v[6:7], v[12:13]
	scratch_store_b128 off, v[10:13], off offset:1232 ; 16-byte Folded Spill
	v_fma_f64 v[99:100], v[4:5], v[10:11], -v[8:9]
	v_mul_f64 v[4:5], v[4:5], v[12:13]
	v_add_f64 v[8:9], v[18:19], -v[38:39]
	ds_load_b128 v[12:15], v226
	v_fma_f64 v[97:98], v[6:7], v[10:11], v[4:5]
	v_add_f64 v[4:5], v[0:1], -v[32:33]
	v_add_f64 v[6:7], v[16:17], -v[36:37]
	s_delay_alu instid0(VALU_DEP_1) | instskip(SKIP_1) | instid1(VALU_DEP_1)
	v_add_f64 v[4:5], v[4:5], v[6:7]
	v_add_f64 v[6:7], v[2:3], -v[34:35]
	v_add_f64 v[6:7], v[6:7], v[8:9]
	v_add_f64 v[8:9], v[32:33], v[36:37]
	s_waitcnt lgkmcnt(0)
	s_delay_alu instid0(VALU_DEP_1) | instskip(SKIP_1) | instid1(VALU_DEP_1)
	v_fma_f64 v[20:21], v[8:9], -0.5, v[12:13]
	v_add_f64 v[8:9], v[34:35], v[38:39]
	v_fma_f64 v[22:23], v[8:9], -0.5, v[14:15]
	s_delay_alu instid0(VALU_DEP_3) | instskip(SKIP_1) | instid1(VALU_DEP_3)
	v_fma_f64 v[8:9], v[24:25], s[16:17], v[20:21]
	v_fma_f64 v[20:21], v[24:25], s[18:19], v[20:21]
	;; [unrolled: 1-line block ×4, first 2 shown]
	s_delay_alu instid0(VALU_DEP_4) | instskip(NEXT) | instid1(VALU_DEP_4)
	v_fma_f64 v[8:9], v[26:27], s[12:13], v[8:9]
	v_fma_f64 v[20:21], v[26:27], s[14:15], v[20:21]
	s_delay_alu instid0(VALU_DEP_4) | instskip(NEXT) | instid1(VALU_DEP_4)
	v_fma_f64 v[10:11], v[30:31], s[14:15], v[10:11]
	v_fma_f64 v[22:23], v[30:31], s[12:13], v[22:23]
	;; [unrolled: 3-line block ×3, first 2 shown]
	v_add_f64 v[20:21], v[0:1], v[16:17]
	v_fma_f64 v[10:11], v[6:7], s[20:21], v[10:11]
	v_fma_f64 v[6:7], v[6:7], s[20:21], v[22:23]
	v_add_f64 v[22:23], v[2:3], v[18:19]
	s_delay_alu instid0(VALU_DEP_4) | instskip(SKIP_2) | instid1(VALU_DEP_4)
	v_fma_f64 v[20:21], v[20:21], -0.5, v[12:13]
	v_add_f64 v[12:13], v[12:13], v[0:1]
	v_add_f64 v[0:1], v[32:33], -v[0:1]
	v_fma_f64 v[22:23], v[22:23], -0.5, v[14:15]
	v_add_f64 v[14:15], v[14:15], v[2:3]
	v_add_f64 v[2:3], v[34:35], -v[2:3]
	v_add_f64 v[12:13], v[12:13], v[32:33]
	v_add_f64 v[32:33], v[36:37], -v[16:17]
	s_delay_alu instid0(VALU_DEP_4) | instskip(NEXT) | instid1(VALU_DEP_3)
	v_add_f64 v[14:15], v[14:15], v[34:35]
	v_add_f64 v[12:13], v[12:13], v[36:37]
	s_delay_alu instid0(VALU_DEP_3)
	v_add_f64 v[0:1], v[0:1], v[32:33]
	ds_load_b128 v[32:35], v226 offset:880
	v_add_f64 v[36:37], v[42:43], -v[70:71]
	v_add_f64 v[14:15], v[14:15], v[38:39]
	v_add_f64 v[12:13], v[12:13], v[16:17]
	v_add_f64 v[16:17], v[38:39], -v[18:19]
	v_add_f64 v[38:39], v[46:47], -v[50:51]
	s_delay_alu instid0(VALU_DEP_4)
	v_add_f64 v[14:15], v[14:15], v[18:19]
	v_fma_f64 v[18:19], v[26:27], s[18:19], v[20:21]
	v_fma_f64 v[20:21], v[26:27], s[16:17], v[20:21]
	;; [unrolled: 1-line block ×4, first 2 shown]
	v_add_f64 v[2:3], v[2:3], v[16:17]
	v_fma_f64 v[16:17], v[24:25], s[12:13], v[18:19]
	v_fma_f64 v[18:19], v[24:25], s[14:15], v[20:21]
	;; [unrolled: 1-line block ×4, first 2 shown]
	s_delay_alu instid0(VALU_DEP_4) | instskip(NEXT) | instid1(VALU_DEP_4)
	v_fma_f64 v[20:21], v[0:1], s[20:21], v[16:17]
	v_fma_f64 v[16:17], v[0:1], s[20:21], v[18:19]
	s_delay_alu instid0(VALU_DEP_4) | instskip(NEXT) | instid1(VALU_DEP_4)
	v_fma_f64 v[22:23], v[2:3], s[20:21], v[24:25]
	v_fma_f64 v[18:19], v[2:3], s[20:21], v[26:27]
	v_add_f64 v[0:1], v[40:41], -v[44:45]
	v_add_f64 v[2:3], v[68:69], -v[48:49]
	;; [unrolled: 1-line block ×3, first 2 shown]
	s_delay_alu instid0(VALU_DEP_2) | instskip(SKIP_1) | instid1(VALU_DEP_1)
	v_add_f64 v[0:1], v[0:1], v[2:3]
	v_add_f64 v[2:3], v[42:43], -v[46:47]
	v_add_f64 v[2:3], v[2:3], v[24:25]
	v_add_f64 v[24:25], v[44:45], v[48:49]
	s_waitcnt lgkmcnt(0)
	s_delay_alu instid0(VALU_DEP_1) | instskip(SKIP_1) | instid1(VALU_DEP_1)
	v_fma_f64 v[28:29], v[24:25], -0.5, v[32:33]
	v_add_f64 v[24:25], v[46:47], v[50:51]
	v_fma_f64 v[30:31], v[24:25], -0.5, v[34:35]
	s_delay_alu instid0(VALU_DEP_3) | instskip(SKIP_1) | instid1(VALU_DEP_3)
	v_fma_f64 v[24:25], v[36:37], s[16:17], v[28:29]
	v_fma_f64 v[28:29], v[36:37], s[18:19], v[28:29]
	;; [unrolled: 1-line block ×4, first 2 shown]
	s_delay_alu instid0(VALU_DEP_4) | instskip(NEXT) | instid1(VALU_DEP_4)
	v_fma_f64 v[24:25], v[38:39], s[12:13], v[24:25]
	v_fma_f64 v[28:29], v[38:39], s[14:15], v[28:29]
	s_delay_alu instid0(VALU_DEP_4) | instskip(NEXT) | instid1(VALU_DEP_4)
	v_fma_f64 v[26:27], v[149:150], s[14:15], v[26:27]
	v_fma_f64 v[30:31], v[149:150], s[12:13], v[30:31]
	;; [unrolled: 3-line block ×3, first 2 shown]
	v_add_f64 v[0:1], v[40:41], v[68:69]
	v_fma_f64 v[26:27], v[2:3], s[20:21], v[26:27]
	v_fma_f64 v[30:31], v[2:3], s[20:21], v[30:31]
	v_add_f64 v[2:3], v[42:43], v[70:71]
	s_delay_alu instid0(VALU_DEP_4) | instskip(SKIP_1) | instid1(VALU_DEP_3)
	v_fma_f64 v[0:1], v[0:1], -0.5, v[32:33]
	v_add_f64 v[32:33], v[32:33], v[40:41]
	v_fma_f64 v[2:3], v[2:3], -0.5, v[34:35]
	v_add_f64 v[34:35], v[34:35], v[42:43]
	s_delay_alu instid0(VALU_DEP_3) | instskip(SKIP_1) | instid1(VALU_DEP_3)
	v_add_f64 v[32:33], v[32:33], v[44:45]
	v_add_f64 v[44:45], v[46:47], -v[42:43]
	v_add_f64 v[34:35], v[34:35], v[46:47]
	v_add_f64 v[46:47], v[48:49], -v[68:69]
	s_delay_alu instid0(VALU_DEP_4) | instskip(NEXT) | instid1(VALU_DEP_3)
	v_add_f64 v[32:33], v[32:33], v[48:49]
	v_add_f64 v[34:35], v[34:35], v[50:51]
	s_delay_alu instid0(VALU_DEP_3) | instskip(NEXT) | instid1(VALU_DEP_3)
	v_add_f64 v[46:47], v[151:152], v[46:47]
	v_add_f64 v[40:41], v[32:33], v[68:69]
	v_add_f64 v[32:33], v[50:51], -v[70:71]
	v_add_f64 v[151:152], v[54:55], -v[64:65]
	v_add_f64 v[42:43], v[34:35], v[70:71]
	v_fma_f64 v[34:35], v[38:39], s[18:19], v[0:1]
	v_fma_f64 v[0:1], v[38:39], s[16:17], v[0:1]
	v_fma_f64 v[38:39], v[149:150], s[16:17], v[2:3]
	v_fma_f64 v[2:3], v[149:150], s[18:19], v[2:3]
	v_add_f64 v[44:45], v[44:45], v[32:33]
	ds_load_b128 v[68:71], v226 offset:1760
	v_add_f64 v[149:150], v[56:57], -v[58:59]
	v_fma_f64 v[32:33], v[36:37], s[12:13], v[34:35]
	v_fma_f64 v[0:1], v[36:37], s[14:15], v[0:1]
	;; [unrolled: 1-line block ×4, first 2 shown]
	v_add_f64 v[147:148], v[52:53], -v[66:67]
	v_fma_f64 v[32:33], v[46:47], s[20:21], v[32:33]
	v_fma_f64 v[36:37], v[46:47], s[20:21], v[0:1]
	v_add_f64 v[0:1], v[54:55], -v[62:63]
	v_fma_f64 v[38:39], v[44:45], s[20:21], v[2:3]
	v_add_f64 v[2:3], v[64:65], -v[60:61]
	;; [unrolled: 2-line block ×3, first 2 shown]
	s_delay_alu instid0(VALU_DEP_3) | instskip(SKIP_1) | instid1(VALU_DEP_1)
	v_add_f64 v[0:1], v[0:1], v[2:3]
	v_add_f64 v[2:3], v[52:53], -v[56:57]
	v_add_f64 v[2:3], v[2:3], v[44:45]
	v_add_f64 v[44:45], v[62:63], v[60:61]
	s_waitcnt lgkmcnt(0)
	s_delay_alu instid0(VALU_DEP_1) | instskip(SKIP_1) | instid1(VALU_DEP_1)
	v_fma_f64 v[48:49], v[44:45], -0.5, v[68:69]
	v_add_f64 v[44:45], v[56:57], v[58:59]
	v_fma_f64 v[50:51], v[44:45], -0.5, v[70:71]
	s_delay_alu instid0(VALU_DEP_3) | instskip(SKIP_1) | instid1(VALU_DEP_3)
	v_fma_f64 v[44:45], v[147:148], s[16:17], v[48:49]
	v_fma_f64 v[48:49], v[147:148], s[18:19], v[48:49]
	;; [unrolled: 1-line block ×3, first 2 shown]
	s_delay_alu instid0(VALU_DEP_3) | instskip(SKIP_1) | instid1(VALU_DEP_4)
	v_fma_f64 v[44:45], v[149:150], s[12:13], v[44:45]
	v_fma_f64 v[50:51], v[151:152], s[16:17], v[50:51]
	;; [unrolled: 1-line block ×3, first 2 shown]
	s_delay_alu instid0(VALU_DEP_4) | instskip(NEXT) | instid1(VALU_DEP_4)
	v_fma_f64 v[46:47], v[153:154], s[14:15], v[46:47]
	v_fma_f64 v[44:45], v[0:1], s[20:21], v[44:45]
	s_delay_alu instid0(VALU_DEP_4) | instskip(NEXT) | instid1(VALU_DEP_4)
	v_fma_f64 v[50:51], v[153:154], s[12:13], v[50:51]
	v_fma_f64 v[48:49], v[0:1], s[20:21], v[48:49]
	v_add_f64 v[0:1], v[54:55], v[64:65]
	v_fma_f64 v[46:47], v[2:3], s[20:21], v[46:47]
	s_delay_alu instid0(VALU_DEP_4) | instskip(SKIP_1) | instid1(VALU_DEP_4)
	v_fma_f64 v[50:51], v[2:3], s[20:21], v[50:51]
	v_add_f64 v[2:3], v[52:53], v[66:67]
	v_fma_f64 v[0:1], v[0:1], -0.5, v[68:69]
	v_add_f64 v[68:69], v[68:69], v[54:55]
	s_delay_alu instid0(VALU_DEP_3) | instskip(SKIP_1) | instid1(VALU_DEP_3)
	v_fma_f64 v[2:3], v[2:3], -0.5, v[70:71]
	v_add_f64 v[70:71], v[70:71], v[52:53]
	v_add_f64 v[54:55], v[68:69], v[62:63]
	s_delay_alu instid0(VALU_DEP_2) | instskip(SKIP_1) | instid1(VALU_DEP_3)
	v_add_f64 v[62:63], v[70:71], v[56:57]
	v_add_f64 v[56:57], v[56:57], -v[52:53]
	v_add_f64 v[52:53], v[54:55], v[60:61]
	v_add_f64 v[60:61], v[60:61], -v[64:65]
	s_delay_alu instid0(VALU_DEP_4) | instskip(SKIP_1) | instid1(VALU_DEP_4)
	v_add_f64 v[54:55], v[62:63], v[58:59]
	v_add_f64 v[58:59], v[58:59], -v[66:67]
	v_add_f64 v[52:53], v[52:53], v[64:65]
	v_fma_f64 v[62:63], v[149:150], s[18:19], v[0:1]
	v_fma_f64 v[0:1], v[149:150], s[16:17], v[0:1]
	;; [unrolled: 1-line block ×4, first 2 shown]
	v_add_f64 v[60:61], v[155:156], v[60:61]
	v_add_f64 v[153:154], v[76:77], -v[78:79]
	v_add_f64 v[155:156], v[74:75], -v[133:134]
	v_add_f64 v[54:55], v[54:55], v[66:67]
	v_add_f64 v[66:67], v[56:57], v[58:59]
	v_fma_f64 v[56:57], v[147:148], s[12:13], v[62:63]
	v_fma_f64 v[0:1], v[147:148], s[14:15], v[0:1]
	;; [unrolled: 1-line block ×4, first 2 shown]
	v_add_f64 v[64:65], v[135:136], -v[78:79]
	ds_load_b128 v[147:150], v226 offset:2640
	v_add_f64 v[151:152], v[72:73], -v[135:136]
	v_fma_f64 v[56:57], v[60:61], s[20:21], v[56:57]
	v_fma_f64 v[60:61], v[60:61], s[20:21], v[0:1]
	v_add_f64 v[0:1], v[74:75], -v[80:81]
	v_fma_f64 v[62:63], v[66:67], s[20:21], v[2:3]
	v_add_f64 v[2:3], v[133:134], -v[82:83]
	v_fma_f64 v[58:59], v[66:67], s[20:21], v[58:59]
	s_delay_alu instid0(VALU_DEP_2) | instskip(SKIP_1) | instid1(VALU_DEP_1)
	v_add_f64 v[0:1], v[0:1], v[2:3]
	v_add_f64 v[2:3], v[72:73], -v[76:77]
	v_add_f64 v[2:3], v[2:3], v[64:65]
	v_add_f64 v[64:65], v[80:81], v[82:83]
	s_waitcnt lgkmcnt(0)
	s_delay_alu instid0(VALU_DEP_1) | instskip(SKIP_1) | instid1(VALU_DEP_1)
	v_fma_f64 v[68:69], v[64:65], -0.5, v[147:148]
	v_add_f64 v[64:65], v[76:77], v[78:79]
	v_fma_f64 v[70:71], v[64:65], -0.5, v[149:150]
	s_delay_alu instid0(VALU_DEP_3) | instskip(SKIP_1) | instid1(VALU_DEP_3)
	v_fma_f64 v[64:65], v[151:152], s[16:17], v[68:69]
	v_fma_f64 v[68:69], v[151:152], s[18:19], v[68:69]
	;; [unrolled: 1-line block ×3, first 2 shown]
	s_delay_alu instid0(VALU_DEP_3) | instskip(SKIP_1) | instid1(VALU_DEP_4)
	v_fma_f64 v[64:65], v[153:154], s[12:13], v[64:65]
	v_fma_f64 v[70:71], v[155:156], s[16:17], v[70:71]
	;; [unrolled: 1-line block ×3, first 2 shown]
	s_delay_alu instid0(VALU_DEP_4) | instskip(NEXT) | instid1(VALU_DEP_4)
	v_fma_f64 v[66:67], v[157:158], s[14:15], v[66:67]
	v_fma_f64 v[64:65], v[0:1], s[20:21], v[64:65]
	s_delay_alu instid0(VALU_DEP_4) | instskip(NEXT) | instid1(VALU_DEP_4)
	v_fma_f64 v[70:71], v[157:158], s[12:13], v[70:71]
	v_fma_f64 v[68:69], v[0:1], s[20:21], v[68:69]
	v_add_f64 v[0:1], v[74:75], v[133:134]
	v_fma_f64 v[66:67], v[2:3], s[20:21], v[66:67]
	s_delay_alu instid0(VALU_DEP_4) | instskip(SKIP_1) | instid1(VALU_DEP_4)
	v_fma_f64 v[70:71], v[2:3], s[20:21], v[70:71]
	v_add_f64 v[2:3], v[72:73], v[135:136]
	v_fma_f64 v[0:1], v[0:1], -0.5, v[147:148]
	v_add_f64 v[147:148], v[147:148], v[74:75]
	s_delay_alu instid0(VALU_DEP_3) | instskip(SKIP_1) | instid1(VALU_DEP_3)
	v_fma_f64 v[2:3], v[2:3], -0.5, v[149:150]
	v_add_f64 v[149:150], v[149:150], v[72:73]
	v_add_f64 v[74:75], v[147:148], v[80:81]
	;; [unrolled: 1-line block ×3, first 2 shown]
	s_delay_alu instid0(VALU_DEP_3) | instskip(SKIP_1) | instid1(VALU_DEP_4)
	v_add_f64 v[80:81], v[149:150], v[76:77]
	v_add_f64 v[76:77], v[76:77], -v[72:73]
	v_add_f64 v[72:73], v[74:75], v[82:83]
	s_delay_alu instid0(VALU_DEP_3) | instskip(SKIP_1) | instid1(VALU_DEP_3)
	v_add_f64 v[74:75], v[80:81], v[78:79]
	v_add_f64 v[80:81], v[82:83], -v[133:134]
	v_add_f64 v[72:73], v[72:73], v[133:134]
	v_add_f64 v[78:79], v[78:79], -v[135:136]
	v_fma_f64 v[82:83], v[153:154], s[18:19], v[0:1]
	v_fma_f64 v[0:1], v[153:154], s[16:17], v[0:1]
	;; [unrolled: 1-line block ×4, first 2 shown]
	v_add_f64 v[157:158], v[121:122], -v[125:126]
	v_add_f64 v[74:75], v[74:75], v[135:136]
	v_add_f64 v[80:81], v[159:160], v[80:81]
	v_add_f64 v[159:160], v[119:120], -v[129:130]
	v_add_f64 v[135:136], v[76:77], v[78:79]
	v_fma_f64 v[76:77], v[151:152], s[12:13], v[82:83]
	v_fma_f64 v[0:1], v[151:152], s[14:15], v[0:1]
	v_fma_f64 v[78:79], v[155:156], s[14:15], v[133:134]
	v_fma_f64 v[2:3], v[155:156], s[12:13], v[2:3]
	v_add_f64 v[133:134], v[131:132], -v[125:126]
	v_add_f64 v[155:156], v[117:118], -v[131:132]
	v_fma_f64 v[76:77], v[80:81], s[20:21], v[76:77]
	v_fma_f64 v[80:81], v[80:81], s[20:21], v[0:1]
	v_add_f64 v[0:1], v[119:120], -v[123:124]
	v_fma_f64 v[82:83], v[135:136], s[20:21], v[2:3]
	v_add_f64 v[2:3], v[129:130], -v[127:128]
	v_fma_f64 v[78:79], v[135:136], s[20:21], v[78:79]
	s_delay_alu instid0(VALU_DEP_2) | instskip(SKIP_1) | instid1(VALU_DEP_1)
	v_add_f64 v[0:1], v[0:1], v[2:3]
	v_add_f64 v[2:3], v[117:118], -v[121:122]
	v_add_f64 v[2:3], v[2:3], v[133:134]
	ds_load_b128 v[133:136], v226 offset:3520
	s_waitcnt lgkmcnt(0)
	v_fma_f64 v[151:152], v[147:148], -0.5, v[133:134]
	v_add_f64 v[147:148], v[121:122], v[125:126]
	s_delay_alu instid0(VALU_DEP_1) | instskip(NEXT) | instid1(VALU_DEP_3)
	v_fma_f64 v[153:154], v[147:148], -0.5, v[135:136]
	v_fma_f64 v[147:148], v[155:156], s[16:17], v[151:152]
	v_fma_f64 v[151:152], v[155:156], s[18:19], v[151:152]
	s_delay_alu instid0(VALU_DEP_3) | instskip(NEXT) | instid1(VALU_DEP_3)
	v_fma_f64 v[149:150], v[159:160], s[18:19], v[153:154]
	v_fma_f64 v[147:148], v[157:158], s[12:13], v[147:148]
	;; [unrolled: 1-line block ×3, first 2 shown]
	s_delay_alu instid0(VALU_DEP_4) | instskip(NEXT) | instid1(VALU_DEP_4)
	v_fma_f64 v[151:152], v[157:158], s[14:15], v[151:152]
	v_fma_f64 v[149:150], v[161:162], s[14:15], v[149:150]
	s_delay_alu instid0(VALU_DEP_4) | instskip(NEXT) | instid1(VALU_DEP_4)
	v_fma_f64 v[147:148], v[0:1], s[20:21], v[147:148]
	v_fma_f64 v[153:154], v[161:162], s[12:13], v[153:154]
	s_delay_alu instid0(VALU_DEP_4) | instskip(SKIP_2) | instid1(VALU_DEP_4)
	v_fma_f64 v[151:152], v[0:1], s[20:21], v[151:152]
	v_add_f64 v[0:1], v[119:120], v[129:130]
	v_fma_f64 v[149:150], v[2:3], s[20:21], v[149:150]
	v_fma_f64 v[153:154], v[2:3], s[20:21], v[153:154]
	v_add_f64 v[2:3], v[117:118], v[131:132]
	s_delay_alu instid0(VALU_DEP_4) | instskip(SKIP_1) | instid1(VALU_DEP_3)
	v_fma_f64 v[0:1], v[0:1], -0.5, v[133:134]
	v_add_f64 v[133:134], v[133:134], v[119:120]
	v_fma_f64 v[2:3], v[2:3], -0.5, v[135:136]
	v_add_f64 v[135:136], v[135:136], v[117:118]
	s_delay_alu instid0(VALU_DEP_3) | instskip(NEXT) | instid1(VALU_DEP_2)
	v_add_f64 v[119:120], v[133:134], v[123:124]
	v_add_f64 v[123:124], v[135:136], v[121:122]
	v_add_f64 v[121:122], v[121:122], -v[117:118]
	s_delay_alu instid0(VALU_DEP_3) | instskip(NEXT) | instid1(VALU_DEP_3)
	v_add_f64 v[117:118], v[119:120], v[127:128]
	v_add_f64 v[119:120], v[123:124], v[125:126]
	v_add_f64 v[123:124], v[127:128], -v[129:130]
	s_delay_alu instid0(VALU_DEP_3)
	v_add_f64 v[117:118], v[117:118], v[129:130]
	v_add_f64 v[125:126], v[125:126], -v[131:132]
	v_fma_f64 v[127:128], v[157:158], s[18:19], v[0:1]
	v_fma_f64 v[0:1], v[157:158], s[16:17], v[0:1]
	;; [unrolled: 1-line block ×4, first 2 shown]
	v_add_f64 v[161:162], v[105:106], -v[107:108]
	v_add_f64 v[119:120], v[119:120], v[131:132]
	v_add_f64 v[131:132], v[163:164], v[123:124]
	v_add_f64 v[163:164], v[103:104], -v[113:114]
	v_add_f64 v[133:134], v[121:122], v[125:126]
	v_fma_f64 v[121:122], v[155:156], s[12:13], v[127:128]
	v_fma_f64 v[0:1], v[155:156], s[14:15], v[0:1]
	v_fma_f64 v[123:124], v[159:160], s[14:15], v[129:130]
	v_fma_f64 v[2:3], v[159:160], s[12:13], v[2:3]
	v_add_f64 v[129:130], v[115:116], -v[107:108]
	v_add_f64 v[159:160], v[101:102], -v[115:116]
	v_fma_f64 v[121:122], v[131:132], s[20:21], v[121:122]
	v_fma_f64 v[125:126], v[131:132], s[20:21], v[0:1]
	v_add_f64 v[0:1], v[103:104], -v[109:110]
	v_fma_f64 v[127:128], v[133:134], s[20:21], v[2:3]
	v_add_f64 v[2:3], v[113:114], -v[111:112]
	v_fma_f64 v[123:124], v[133:134], s[20:21], v[123:124]
	v_add_f64 v[133:134], v[109:110], v[111:112]
	s_delay_alu instid0(VALU_DEP_3) | instskip(SKIP_1) | instid1(VALU_DEP_1)
	v_add_f64 v[0:1], v[0:1], v[2:3]
	v_add_f64 v[2:3], v[101:102], -v[105:106]
	v_add_f64 v[2:3], v[2:3], v[129:130]
	ds_load_b128 v[129:132], v226 offset:4400
	s_waitcnt lgkmcnt(0)
	v_fma_f64 v[155:156], v[133:134], -0.5, v[129:130]
	v_add_f64 v[133:134], v[105:106], v[107:108]
	s_delay_alu instid0(VALU_DEP_1) | instskip(NEXT) | instid1(VALU_DEP_3)
	v_fma_f64 v[157:158], v[133:134], -0.5, v[131:132]
	v_fma_f64 v[133:134], v[159:160], s[16:17], v[155:156]
	v_fma_f64 v[155:156], v[159:160], s[18:19], v[155:156]
	s_delay_alu instid0(VALU_DEP_3) | instskip(NEXT) | instid1(VALU_DEP_3)
	v_fma_f64 v[135:136], v[163:164], s[18:19], v[157:158]
	v_fma_f64 v[133:134], v[161:162], s[12:13], v[133:134]
	;; [unrolled: 1-line block ×3, first 2 shown]
	s_delay_alu instid0(VALU_DEP_4) | instskip(NEXT) | instid1(VALU_DEP_4)
	v_fma_f64 v[155:156], v[161:162], s[14:15], v[155:156]
	v_fma_f64 v[135:136], v[165:166], s[14:15], v[135:136]
	s_delay_alu instid0(VALU_DEP_4) | instskip(NEXT) | instid1(VALU_DEP_4)
	v_fma_f64 v[133:134], v[0:1], s[20:21], v[133:134]
	v_fma_f64 v[157:158], v[165:166], s[12:13], v[157:158]
	s_delay_alu instid0(VALU_DEP_4) | instskip(SKIP_2) | instid1(VALU_DEP_4)
	v_fma_f64 v[155:156], v[0:1], s[20:21], v[155:156]
	v_add_f64 v[0:1], v[103:104], v[113:114]
	v_fma_f64 v[135:136], v[2:3], s[20:21], v[135:136]
	v_fma_f64 v[157:158], v[2:3], s[20:21], v[157:158]
	v_add_f64 v[2:3], v[101:102], v[115:116]
	s_delay_alu instid0(VALU_DEP_4) | instskip(SKIP_1) | instid1(VALU_DEP_3)
	v_fma_f64 v[0:1], v[0:1], -0.5, v[129:130]
	v_add_f64 v[129:130], v[129:130], v[103:104]
	v_fma_f64 v[2:3], v[2:3], -0.5, v[131:132]
	v_add_f64 v[131:132], v[131:132], v[101:102]
	s_delay_alu instid0(VALU_DEP_3) | instskip(SKIP_1) | instid1(VALU_DEP_3)
	v_add_f64 v[103:104], v[129:130], v[109:110]
	v_add_f64 v[129:130], v[93:94], v[95:96]
	;; [unrolled: 1-line block ×3, first 2 shown]
	v_add_f64 v[105:106], v[105:106], -v[101:102]
	s_delay_alu instid0(VALU_DEP_4) | instskip(SKIP_1) | instid1(VALU_DEP_4)
	v_add_f64 v[101:102], v[103:104], v[111:112]
	v_add_f64 v[131:132], v[87:88], v[91:92]
	;; [unrolled: 1-line block ×3, first 2 shown]
	v_add_f64 v[109:110], v[111:112], -v[113:114]
	s_delay_alu instid0(VALU_DEP_4)
	v_add_f64 v[101:102], v[101:102], v[113:114]
	v_add_f64 v[107:108], v[107:108], -v[115:116]
	v_fma_f64 v[111:112], v[161:162], s[18:19], v[0:1]
	v_fma_f64 v[0:1], v[161:162], s[16:17], v[0:1]
	;; [unrolled: 1-line block ×4, first 2 shown]
	v_add_f64 v[165:166], v[87:88], -v[91:92]
	v_add_f64 v[103:104], v[103:104], v[115:116]
	v_add_f64 v[109:110], v[167:168], v[109:110]
	v_add_f64 v[167:168], v[89:90], -v[99:100]
	v_add_f64 v[115:116], v[105:106], v[107:108]
	v_fma_f64 v[105:106], v[159:160], s[12:13], v[111:112]
	v_fma_f64 v[0:1], v[159:160], s[14:15], v[0:1]
	;; [unrolled: 1-line block ×4, first 2 shown]
	v_add_f64 v[113:114], v[97:98], -v[91:92]
	v_add_f64 v[163:164], v[85:86], -v[97:98]
	v_fma_f64 v[105:106], v[109:110], s[20:21], v[105:106]
	v_fma_f64 v[109:110], v[109:110], s[20:21], v[0:1]
	v_add_f64 v[0:1], v[89:90], -v[93:94]
	v_fma_f64 v[111:112], v[115:116], s[20:21], v[2:3]
	v_add_f64 v[2:3], v[99:100], -v[95:96]
	v_fma_f64 v[107:108], v[115:116], s[20:21], v[107:108]
	s_delay_alu instid0(VALU_DEP_2) | instskip(SKIP_1) | instid1(VALU_DEP_1)
	v_add_f64 v[0:1], v[0:1], v[2:3]
	v_add_f64 v[2:3], v[85:86], -v[87:88]
	v_add_f64 v[2:3], v[2:3], v[113:114]
	ds_load_b128 v[113:116], v226 offset:5280
	s_waitcnt lgkmcnt(0)
	s_waitcnt_vscnt null, 0x0
	s_barrier
	buffer_gl0_inv
	ds_store_b128 v226, v[12:15]
	ds_store_b128 v226, v[8:11] offset:1232
	ds_store_b128 v226, v[20:23] offset:2464
	;; [unrolled: 1-line block ×4, first 2 shown]
	v_fma_f64 v[159:160], v[129:130], -0.5, v[113:114]
	v_fma_f64 v[161:162], v[131:132], -0.5, v[115:116]
	s_delay_alu instid0(VALU_DEP_2) | instskip(NEXT) | instid1(VALU_DEP_2)
	v_fma_f64 v[129:130], v[163:164], s[16:17], v[159:160]
	v_fma_f64 v[131:132], v[167:168], s[18:19], v[161:162]
	;; [unrolled: 1-line block ×4, first 2 shown]
	s_delay_alu instid0(VALU_DEP_4) | instskip(NEXT) | instid1(VALU_DEP_4)
	v_fma_f64 v[129:130], v[165:166], s[12:13], v[129:130]
	v_fma_f64 v[131:132], v[169:170], s[14:15], v[131:132]
	s_delay_alu instid0(VALU_DEP_4) | instskip(NEXT) | instid1(VALU_DEP_4)
	v_fma_f64 v[159:160], v[165:166], s[14:15], v[159:160]
	v_fma_f64 v[161:162], v[169:170], s[12:13], v[161:162]
	s_delay_alu instid0(VALU_DEP_4) | instskip(NEXT) | instid1(VALU_DEP_4)
	v_fma_f64 v[129:130], v[0:1], s[20:21], v[129:130]
	v_fma_f64 v[131:132], v[2:3], s[20:21], v[131:132]
	s_delay_alu instid0(VALU_DEP_4) | instskip(NEXT) | instid1(VALU_DEP_4)
	v_fma_f64 v[159:160], v[0:1], s[20:21], v[159:160]
	v_fma_f64 v[161:162], v[2:3], s[20:21], v[161:162]
	v_add_f64 v[0:1], v[89:90], v[99:100]
	v_add_f64 v[2:3], v[85:86], v[97:98]
	s_delay_alu instid0(VALU_DEP_2) | instskip(NEXT) | instid1(VALU_DEP_2)
	v_fma_f64 v[0:1], v[0:1], -0.5, v[113:114]
	v_fma_f64 v[2:3], v[2:3], -0.5, v[115:116]
	v_add_f64 v[113:114], v[113:114], v[89:90]
	v_add_f64 v[115:116], v[115:116], v[85:86]
	v_add_f64 v[89:90], v[93:94], -v[89:90]
	v_add_f64 v[85:86], v[87:88], -v[85:86]
	v_fma_f64 v[171:172], v[165:166], s[18:19], v[0:1]
	v_fma_f64 v[0:1], v[165:166], s[16:17], v[0:1]
	v_add_f64 v[113:114], v[113:114], v[93:94]
	v_add_f64 v[93:94], v[115:116], v[87:88]
	v_add_f64 v[165:166], v[95:96], -v[99:100]
	v_add_f64 v[87:88], v[91:92], -v[97:98]
	v_fma_f64 v[0:1], v[163:164], s[14:15], v[0:1]
	v_add_f64 v[113:114], v[113:114], v[95:96]
	v_add_f64 v[115:116], v[93:94], v[91:92]
	v_fma_f64 v[91:92], v[169:170], s[16:17], v[2:3]
	v_fma_f64 v[2:3], v[169:170], s[18:19], v[2:3]
	v_add_f64 v[89:90], v[89:90], v[165:166]
	v_add_f64 v[93:94], v[113:114], v[99:100]
	v_add_f64 v[95:96], v[115:116], v[97:98]
	v_fma_f64 v[97:98], v[163:164], s[12:13], v[171:172]
	v_add_f64 v[99:100], v[85:86], v[87:88]
	v_fma_f64 v[87:88], v[167:168], s[14:15], v[91:92]
	v_fma_f64 v[2:3], v[167:168], s[12:13], v[2:3]
	s_delay_alu instid0(VALU_DEP_4)
	v_fma_f64 v[85:86], v[89:90], s[20:21], v[97:98]
	v_fma_f64 v[89:90], v[89:90], s[20:21], v[0:1]
	v_cndmask_b32_e64 v0, 0, 0x181, s0
	v_fma_f64 v[87:88], v[99:100], s[20:21], v[87:88]
	v_fma_f64 v[91:92], v[99:100], s[20:21], v[2:3]
	v_add_co_u32 v4, s0, s10, v138
	s_delay_alu instid0(VALU_DEP_4)
	v_add_lshl_u32 v0, v84, v0, 4
	ds_store_b128 v0, v[40:43]
	ds_store_b128 v0, v[24:27] offset:1232
	ds_store_b128 v0, v[32:35] offset:2464
	;; [unrolled: 1-line block ×3, first 2 shown]
	scratch_store_b32 off, v0, off offset:1420 ; 4-byte Folded Spill
	ds_store_b128 v0, v[28:31] offset:4928
	v_and_b32_e32 v0, 0xffff, v139
	v_add_co_ci_u32_e64 v5, null, s11, 0, s0
	s_delay_alu instid0(VALU_DEP_2) | instskip(NEXT) | instid1(VALU_DEP_1)
	v_mul_u32_u24_e32 v0, 0x181, v0
	v_add_lshl_u32 v0, v0, v140, 4
	ds_store_b128 v0, v[52:55]
	ds_store_b128 v0, v[44:47] offset:1232
	ds_store_b128 v0, v[56:59] offset:2464
	;; [unrolled: 1-line block ×3, first 2 shown]
	scratch_store_b32 off, v0, off offset:1348 ; 4-byte Folded Spill
	ds_store_b128 v0, v[48:51] offset:4928
	v_lshlrev_b32_e32 v0, 4, v142
	ds_store_b128 v0, v[72:75] offset:12320
	ds_store_b128 v0, v[64:67] offset:13552
	;; [unrolled: 1-line block ×4, first 2 shown]
	scratch_store_b32 off, v0, off offset:1312 ; 4-byte Folded Spill
	ds_store_b128 v0, v[68:71] offset:17248
	v_mad_u16 v0, 0x181, v141, v143
	s_delay_alu instid0(VALU_DEP_1) | instskip(NEXT) | instid1(VALU_DEP_1)
	v_and_b32_e32 v0, 0xffff, v0
	v_lshlrev_b32_e32 v0, 4, v0
	ds_store_b128 v0, v[117:120]
	ds_store_b128 v0, v[147:150] offset:1232
	ds_store_b128 v0, v[121:124] offset:2464
	;; [unrolled: 1-line block ×3, first 2 shown]
	scratch_store_b32 off, v0, off offset:1252 ; 4-byte Folded Spill
	ds_store_b128 v0, v[151:154] offset:4928
	v_mad_u16 v0, 0x181, v144, v145
	s_delay_alu instid0(VALU_DEP_1) | instskip(NEXT) | instid1(VALU_DEP_1)
	v_and_b32_e32 v0, 0xffff, v0
	v_lshlrev_b32_e32 v0, 4, v0
	ds_store_b128 v0, v[101:104]
	ds_store_b128 v0, v[133:136] offset:1232
	ds_store_b128 v0, v[105:108] offset:2464
	;; [unrolled: 1-line block ×3, first 2 shown]
	scratch_store_b32 off, v0, off offset:1248 ; 4-byte Folded Spill
	ds_store_b128 v0, v[155:158] offset:4928
	v_and_b32_e32 v0, 0xffff, v146
	s_delay_alu instid0(VALU_DEP_1)
	v_lshlrev_b32_e32 v0, 4, v0
	ds_store_b128 v0, v[93:96] offset:24640
	ds_store_b128 v0, v[129:132] offset:25872
	ds_store_b128 v0, v[85:88] offset:27104
	ds_store_b128 v0, v[89:92] offset:28336
	scratch_store_b32 off, v0, off offset:1060 ; 4-byte Folded Spill
	ds_store_b128 v0, v[159:162] offset:29568
	v_add_co_u32 v0, s0, 0x1000, v4
	s_delay_alu instid0(VALU_DEP_1)
	v_add_co_ci_u32_e64 v1, s0, 0, v5, s0
	s_waitcnt lgkmcnt(0)
	s_waitcnt_vscnt null, 0x0
	s_barrier
	buffer_gl0_inv
	global_load_b128 v[12:15], v[0:1], off offset:1952
	ds_load_b128 v[8:11], v226 offset:6160
	ds_load_b128 v[52:55], v226
	v_add_co_u32 v4, s0, 0x17a0, v4
	s_delay_alu instid0(VALU_DEP_1)
	v_add_co_ci_u32_e64 v5, s0, 0, v5, s0
	ds_load_b128 v[32:35], v226 offset:29040
	ds_load_b128 v[36:39], v226 offset:11440
	;; [unrolled: 1-line block ×6, first 2 shown]
	s_waitcnt vmcnt(0) lgkmcnt(7)
	v_mul_f64 v[0:1], v[10:11], v[14:15]
	v_mul_f64 v[2:3], v[8:9], v[14:15]
	scratch_store_b128 off, v[12:15], off offset:1184 ; 16-byte Folded Spill
	v_fma_f64 v[0:1], v[8:9], v[12:13], -v[0:1]
	v_fma_f64 v[2:3], v[10:11], v[12:13], v[2:3]
	global_load_b128 v[12:15], v[4:5], off offset:16
	ds_load_b128 v[8:11], v226 offset:12320
	s_waitcnt vmcnt(0) lgkmcnt(0)
	v_mul_f64 v[6:7], v[10:11], v[14:15]
	scratch_store_b128 off, v[12:15], off offset:1460 ; 16-byte Folded Spill
	v_fma_f64 v[6:7], v[8:9], v[12:13], -v[6:7]
	v_mul_f64 v[8:9], v[8:9], v[14:15]
	global_load_b128 v[14:17], v[4:5], off offset:32
	v_fma_f64 v[60:61], v[10:11], v[12:13], v[8:9]
	ds_load_b128 v[8:11], v226 offset:18480
	s_waitcnt vmcnt(0) lgkmcnt(0)
	v_mul_f64 v[12:13], v[10:11], v[16:17]
	scratch_store_b128 off, v[14:17], off offset:1476 ; 16-byte Folded Spill
	v_fma_f64 v[62:63], v[8:9], v[14:15], -v[12:13]
	v_mul_f64 v[8:9], v[8:9], v[16:17]
	s_delay_alu instid0(VALU_DEP_2) | instskip(NEXT) | instid1(VALU_DEP_2)
	v_add_f64 v[94:95], v[6:7], -v[62:63]
	v_fma_f64 v[68:69], v[10:11], v[14:15], v[8:9]
	global_load_b128 v[12:15], v[4:5], off offset:48
	ds_load_b128 v[8:11], v226 offset:24640
	v_add_f64 v[74:75], v[60:61], -v[68:69]
	s_waitcnt vmcnt(0) lgkmcnt(0)
	v_mul_f64 v[4:5], v[10:11], v[14:15]
	scratch_store_b128 off, v[12:15], off offset:1508 ; 16-byte Folded Spill
	v_fma_f64 v[4:5], v[8:9], v[12:13], -v[4:5]
	v_mul_f64 v[8:9], v[8:9], v[14:15]
	s_delay_alu instid0(VALU_DEP_2) | instskip(NEXT) | instid1(VALU_DEP_2)
	v_add_f64 v[92:93], v[0:1], -v[4:5]
	v_fma_f64 v[70:71], v[10:11], v[12:13], v[8:9]
	v_lshlrev_b32_e32 v8, 6, v173
	s_delay_alu instid0(VALU_DEP_1) | instskip(NEXT) | instid1(VALU_DEP_1)
	v_add_co_u32 v14, s0, s10, v8
	v_add_co_ci_u32_e64 v15, null, s11, 0, s0
	s_delay_alu instid0(VALU_DEP_2) | instskip(NEXT) | instid1(VALU_DEP_1)
	v_add_co_u32 v8, s0, 0x1000, v14
	v_add_co_ci_u32_e64 v9, s0, 0, v15, s0
	global_load_b128 v[16:19], v[8:9], off offset:1952
	ds_load_b128 v[8:11], v226 offset:7040
	v_add_f64 v[72:73], v[2:3], -v[70:71]
	s_waitcnt vmcnt(0) lgkmcnt(0)
	v_mul_f64 v[12:13], v[10:11], v[18:19]
	scratch_store_b128 off, v[16:19], off offset:1524 ; 16-byte Folded Spill
	v_fma_f64 v[78:79], v[8:9], v[16:17], -v[12:13]
	v_mul_f64 v[8:9], v[8:9], v[18:19]
	v_add_co_u32 v12, s0, 0x17a0, v14
	s_delay_alu instid0(VALU_DEP_1) | instskip(NEXT) | instid1(VALU_DEP_3)
	v_add_co_ci_u32_e64 v13, s0, 0, v15, s0
	v_fma_f64 v[76:77], v[10:11], v[16:17], v[8:9]
	global_load_b128 v[16:19], v[12:13], off offset:16
	ds_load_b128 v[8:11], v226 offset:13200
	s_waitcnt vmcnt(0) lgkmcnt(0)
	v_mul_f64 v[14:15], v[10:11], v[18:19]
	scratch_store_b128 off, v[16:19], off offset:1540 ; 16-byte Folded Spill
	v_fma_f64 v[82:83], v[8:9], v[16:17], -v[14:15]
	v_mul_f64 v[8:9], v[8:9], v[18:19]
	s_delay_alu instid0(VALU_DEP_1)
	v_fma_f64 v[80:81], v[10:11], v[16:17], v[8:9]
	global_load_b128 v[16:19], v[12:13], off offset:32
	ds_load_b128 v[8:11], v226 offset:19360
	s_waitcnt vmcnt(0) lgkmcnt(0)
	v_mul_f64 v[14:15], v[10:11], v[18:19]
	scratch_store_b128 off, v[16:19], off offset:1556 ; 16-byte Folded Spill
	v_fma_f64 v[86:87], v[8:9], v[16:17], -v[14:15]
	v_mul_f64 v[8:9], v[8:9], v[18:19]
	s_delay_alu instid0(VALU_DEP_2) | instskip(NEXT) | instid1(VALU_DEP_2)
	v_add_f64 v[114:115], v[82:83], -v[86:87]
	v_fma_f64 v[84:85], v[10:11], v[16:17], v[8:9]
	global_load_b128 v[14:17], v[12:13], off offset:48
	ds_load_b128 v[8:11], v226 offset:25520
	s_waitcnt vmcnt(0) lgkmcnt(0)
	v_mul_f64 v[12:13], v[10:11], v[16:17]
	scratch_store_b128 off, v[14:17], off offset:1572 ; 16-byte Folded Spill
	v_fma_f64 v[88:89], v[8:9], v[14:15], -v[12:13]
	v_mul_f64 v[8:9], v[8:9], v[16:17]
	s_delay_alu instid0(VALU_DEP_2) | instskip(NEXT) | instid1(VALU_DEP_2)
	v_add_f64 v[112:113], v[78:79], -v[88:89]
	v_fma_f64 v[90:91], v[10:11], v[14:15], v[8:9]
	v_lshlrev_b32_e32 v8, 6, v174
	s_delay_alu instid0(VALU_DEP_1) | instskip(NEXT) | instid1(VALU_DEP_1)
	v_add_co_u32 v14, s0, s10, v8
	v_add_co_ci_u32_e64 v15, null, s11, 0, s0
	s_delay_alu instid0(VALU_DEP_2) | instskip(NEXT) | instid1(VALU_DEP_1)
	v_add_co_u32 v8, s0, 0x1000, v14
	v_add_co_ci_u32_e64 v9, s0, 0, v15, s0
	global_load_b128 v[16:19], v[8:9], off offset:1952
	ds_load_b128 v[8:11], v226 offset:7920
	s_waitcnt vmcnt(0) lgkmcnt(0)
	v_mul_f64 v[12:13], v[10:11], v[18:19]
	scratch_store_b128 off, v[16:19], off offset:1620 ; 16-byte Folded Spill
	v_fma_f64 v[98:99], v[8:9], v[16:17], -v[12:13]
	v_mul_f64 v[8:9], v[8:9], v[18:19]
	v_add_co_u32 v12, s0, 0x17a0, v14
	s_delay_alu instid0(VALU_DEP_1) | instskip(NEXT) | instid1(VALU_DEP_3)
	v_add_co_ci_u32_e64 v13, s0, 0, v15, s0
	v_fma_f64 v[96:97], v[10:11], v[16:17], v[8:9]
	global_load_b128 v[16:19], v[12:13], off offset:16
	ds_load_b128 v[8:11], v226 offset:14080
	s_waitcnt vmcnt(0) lgkmcnt(0)
	v_mul_f64 v[14:15], v[10:11], v[18:19]
	scratch_store_b128 off, v[16:19], off offset:1652 ; 16-byte Folded Spill
	v_fma_f64 v[102:103], v[8:9], v[16:17], -v[14:15]
	v_mul_f64 v[8:9], v[8:9], v[18:19]
	s_delay_alu instid0(VALU_DEP_1)
	v_fma_f64 v[100:101], v[10:11], v[16:17], v[8:9]
	global_load_b128 v[16:19], v[12:13], off offset:32
	ds_load_b128 v[8:11], v226 offset:20240
	s_waitcnt vmcnt(0) lgkmcnt(0)
	v_mul_f64 v[14:15], v[10:11], v[18:19]
	scratch_store_b128 off, v[16:19], off offset:1668 ; 16-byte Folded Spill
	v_fma_f64 v[106:107], v[8:9], v[16:17], -v[14:15]
	v_mul_f64 v[8:9], v[8:9], v[18:19]
	s_delay_alu instid0(VALU_DEP_2) | instskip(NEXT) | instid1(VALU_DEP_2)
	v_add_f64 v[178:179], v[102:103], -v[106:107]
	v_fma_f64 v[104:105], v[10:11], v[16:17], v[8:9]
	global_load_b128 v[14:17], v[12:13], off offset:48
	ds_load_b128 v[8:11], v226 offset:26400
	s_waitcnt vmcnt(0) lgkmcnt(0)
	v_mul_f64 v[12:13], v[10:11], v[16:17]
	scratch_store_b128 off, v[14:17], off offset:1684 ; 16-byte Folded Spill
	v_fma_f64 v[108:109], v[8:9], v[14:15], -v[12:13]
	v_mul_f64 v[8:9], v[8:9], v[16:17]
	s_delay_alu instid0(VALU_DEP_1) | instskip(SKIP_1) | instid1(VALU_DEP_1)
	v_fma_f64 v[110:111], v[10:11], v[14:15], v[8:9]
	v_lshlrev_b32_e32 v8, 6, v175
	v_add_co_u32 v14, s0, s10, v8
	s_delay_alu instid0(VALU_DEP_1) | instskip(NEXT) | instid1(VALU_DEP_2)
	v_add_co_ci_u32_e64 v15, null, s11, 0, s0
	v_add_co_u32 v8, s0, 0x1000, v14
	s_delay_alu instid0(VALU_DEP_1)
	v_add_co_ci_u32_e64 v9, s0, 0, v15, s0
	global_load_b128 v[16:19], v[8:9], off offset:1952
	ds_load_b128 v[8:11], v226 offset:8800
	s_waitcnt vmcnt(0) lgkmcnt(0)
	v_mul_f64 v[12:13], v[10:11], v[18:19]
	scratch_store_b128 off, v[16:19], off offset:1764 ; 16-byte Folded Spill
	v_fma_f64 v[118:119], v[8:9], v[16:17], -v[12:13]
	v_mul_f64 v[8:9], v[8:9], v[18:19]
	v_add_co_u32 v12, s0, 0x17a0, v14
	s_delay_alu instid0(VALU_DEP_1) | instskip(NEXT) | instid1(VALU_DEP_3)
	v_add_co_ci_u32_e64 v13, s0, 0, v15, s0
	v_fma_f64 v[116:117], v[10:11], v[16:17], v[8:9]
	global_load_b128 v[16:19], v[12:13], off offset:16
	ds_load_b128 v[8:11], v226 offset:14960
	s_waitcnt vmcnt(0) lgkmcnt(0)
	v_mul_f64 v[14:15], v[10:11], v[18:19]
	scratch_store_b128 off, v[16:19], off offset:1924 ; 16-byte Folded Spill
	v_fma_f64 v[172:173], v[8:9], v[16:17], -v[14:15]
	v_mul_f64 v[8:9], v[8:9], v[18:19]
	s_delay_alu instid0(VALU_DEP_1)
	v_fma_f64 v[168:169], v[10:11], v[16:17], v[8:9]
	global_load_b128 v[16:19], v[12:13], off offset:32
	ds_load_b128 v[8:11], v226 offset:21120
	s_waitcnt vmcnt(0) lgkmcnt(0)
	v_mul_f64 v[14:15], v[10:11], v[18:19]
	scratch_store_b128 off, v[16:19], off offset:1908 ; 16-byte Folded Spill
	v_fma_f64 v[174:175], v[8:9], v[16:17], -v[14:15]
	v_mul_f64 v[8:9], v[8:9], v[18:19]
	s_delay_alu instid0(VALU_DEP_2) | instskip(NEXT) | instid1(VALU_DEP_2)
	v_add_f64 v[186:187], v[172:173], -v[174:175]
	v_fma_f64 v[170:171], v[10:11], v[16:17], v[8:9]
	global_load_b128 v[14:17], v[12:13], off offset:48
	ds_load_b128 v[8:11], v226 offset:27280
	s_waitcnt vmcnt(0) lgkmcnt(0)
	v_mul_f64 v[12:13], v[10:11], v[16:17]
	scratch_store_b128 off, v[14:17], off offset:1940 ; 16-byte Folded Spill
	v_fma_f64 v[180:181], v[8:9], v[14:15], -v[12:13]
	v_mul_f64 v[8:9], v[8:9], v[16:17]
	s_delay_alu instid0(VALU_DEP_2) | instskip(NEXT) | instid1(VALU_DEP_2)
	v_add_f64 v[184:185], v[118:119], -v[180:181]
	v_fma_f64 v[182:183], v[10:11], v[14:15], v[8:9]
	v_lshlrev_b32_e32 v8, 6, v177
	s_delay_alu instid0(VALU_DEP_1) | instskip(NEXT) | instid1(VALU_DEP_1)
	v_add_co_u32 v14, s0, s10, v8
	v_add_co_ci_u32_e64 v15, null, s11, 0, s0
	s_delay_alu instid0(VALU_DEP_2) | instskip(NEXT) | instid1(VALU_DEP_1)
	v_add_co_u32 v8, s0, 0x1000, v14
	v_add_co_ci_u32_e64 v9, s0, 0, v15, s0
	global_load_b128 v[16:19], v[8:9], off offset:1952
	ds_load_b128 v[8:11], v226 offset:9680
	s_waitcnt vmcnt(0) lgkmcnt(0)
	v_mul_f64 v[12:13], v[10:11], v[18:19]
	scratch_store_b128 off, v[16:19], off offset:1956 ; 16-byte Folded Spill
	v_fma_f64 v[154:155], v[8:9], v[16:17], -v[12:13]
	v_mul_f64 v[8:9], v[8:9], v[18:19]
	s_delay_alu instid0(VALU_DEP_1) | instskip(SKIP_1) | instid1(VALU_DEP_1)
	v_fma_f64 v[152:153], v[10:11], v[16:17], v[8:9]
	v_add_co_u32 v16, s0, 0x17a0, v14
	v_add_co_ci_u32_e64 v17, s0, 0, v15, s0
	ds_load_b128 v[8:11], v226 offset:15840
	global_load_b128 v[18:21], v[16:17], off offset:16
	s_waitcnt vmcnt(0) lgkmcnt(0)
	v_mul_f64 v[12:13], v[10:11], v[20:21]
	s_delay_alu instid0(VALU_DEP_1)
	v_fma_f64 v[160:161], v[8:9], v[18:19], -v[12:13]
	global_load_b128 v[12:15], v[16:17], off offset:32
	v_mul_f64 v[8:9], v[8:9], v[20:21]
	scratch_store_b128 off, v[18:21], off offset:1972 ; 16-byte Folded Spill
	ds_load_b128 v[20:23], v226 offset:10560
	v_fma_f64 v[156:157], v[10:11], v[18:19], v[8:9]
	ds_load_b128 v[8:11], v226 offset:22000
	s_waitcnt vmcnt(0) lgkmcnt(0)
	v_mul_f64 v[18:19], v[10:11], v[14:15]
	scratch_store_b128 off, v[12:15], off offset:2004 ; 16-byte Folded Spill
	v_fma_f64 v[162:163], v[8:9], v[12:13], -v[18:19]
	v_mul_f64 v[8:9], v[8:9], v[14:15]
	s_delay_alu instid0(VALU_DEP_2) | instskip(NEXT) | instid1(VALU_DEP_2)
	v_add_f64 v[190:191], v[160:161], -v[162:163]
	v_fma_f64 v[158:159], v[10:11], v[12:13], v[8:9]
	global_load_b128 v[10:13], v[16:17], off offset:48
	ds_load_b128 v[16:19], v226 offset:28160
	s_waitcnt vmcnt(0) lgkmcnt(0)
	v_mul_f64 v[8:9], v[18:19], v[12:13]
	scratch_store_b128 off, v[10:13], off offset:1988 ; 16-byte Folded Spill
	v_fma_f64 v[166:167], v[16:17], v[10:11], -v[8:9]
	v_mul_f64 v[8:9], v[16:17], v[12:13]
	s_delay_alu instid0(VALU_DEP_2) | instskip(NEXT) | instid1(VALU_DEP_2)
	v_add_f64 v[188:189], v[154:155], -v[166:167]
	v_fma_f64 v[164:165], v[18:19], v[10:11], v[8:9]
	v_lshlrev_b32_e32 v8, 6, v137
	s_delay_alu instid0(VALU_DEP_1) | instskip(NEXT) | instid1(VALU_DEP_1)
	v_add_co_u32 v10, s0, s10, v8
	v_add_co_ci_u32_e64 v11, null, s11, 0, s0
	s_delay_alu instid0(VALU_DEP_2) | instskip(NEXT) | instid1(VALU_DEP_1)
	v_add_co_u32 v8, s0, 0x1000, v10
	v_add_co_ci_u32_e64 v9, s0, 0, v11, s0
	global_load_b128 v[12:15], v[8:9], off offset:1952
	s_waitcnt vmcnt(0)
	v_mul_f64 v[8:9], v[22:23], v[14:15]
	scratch_store_b128 off, v[12:15], off offset:2020 ; 16-byte Folded Spill
	v_fma_f64 v[140:141], v[20:21], v[12:13], -v[8:9]
	v_mul_f64 v[8:9], v[20:21], v[14:15]
	s_delay_alu instid0(VALU_DEP_1) | instskip(SKIP_1) | instid1(VALU_DEP_1)
	v_fma_f64 v[136:137], v[22:23], v[12:13], v[8:9]
	v_add_co_u32 v8, s0, 0x17a0, v10
	v_add_co_ci_u32_e64 v9, s0, 0, v11, s0
	ds_load_b128 v[20:23], v226 offset:16720
	global_load_b128 v[12:15], v[8:9], off offset:16
	s_waitcnt vmcnt(0) lgkmcnt(0)
	v_mul_f64 v[10:11], v[22:23], v[14:15]
	scratch_store_b128 off, v[12:15], off offset:2052 ; 16-byte Folded Spill
	v_fma_f64 v[144:145], v[20:21], v[12:13], -v[10:11]
	v_mul_f64 v[10:11], v[20:21], v[14:15]
	s_delay_alu instid0(VALU_DEP_1)
	v_fma_f64 v[138:139], v[22:23], v[12:13], v[10:11]
	global_load_b128 v[12:15], v[8:9], off offset:32
	s_waitcnt vmcnt(0)
	v_mul_f64 v[10:11], v[30:31], v[14:15]
	scratch_store_b128 off, v[12:15], off offset:2036 ; 16-byte Folded Spill
	v_fma_f64 v[146:147], v[28:29], v[12:13], -v[10:11]
	v_mul_f64 v[10:11], v[28:29], v[14:15]
	s_delay_alu instid0(VALU_DEP_2) | instskip(NEXT) | instid1(VALU_DEP_2)
	v_add_f64 v[194:195], v[144:145], -v[146:147]
	v_fma_f64 v[142:143], v[30:31], v[12:13], v[10:11]
	global_load_b128 v[10:13], v[8:9], off offset:48
	s_waitcnt vmcnt(0)
	v_mul_f64 v[8:9], v[34:35], v[12:13]
	scratch_store_b128 off, v[10:13], off offset:2068 ; 16-byte Folded Spill
	v_fma_f64 v[150:151], v[32:33], v[10:11], -v[8:9]
	v_mul_f64 v[8:9], v[32:33], v[12:13]
	s_delay_alu instid0(VALU_DEP_2) | instskip(NEXT) | instid1(VALU_DEP_2)
	v_add_f64 v[192:193], v[140:141], -v[150:151]
	v_fma_f64 v[148:149], v[34:35], v[10:11], v[8:9]
	v_lshlrev_b32_e32 v8, 6, v176
	v_add_f64 v[176:177], v[98:99], -v[108:109]
	s_delay_alu instid0(VALU_DEP_2) | instskip(NEXT) | instid1(VALU_DEP_1)
	v_add_co_u32 v10, s0, s10, v8
	v_add_co_ci_u32_e64 v11, null, s11, 0, s0
	s_mov_b32 s10, 0x429ad128
	s_delay_alu instid0(VALU_DEP_2) | instskip(NEXT) | instid1(VALU_DEP_1)
	v_add_co_u32 v8, s0, 0x1000, v10
	v_add_co_ci_u32_e64 v9, s0, 0, v11, s0
	s_mov_b32 s11, 0xbfebfeb5
	global_load_b128 v[12:15], v[8:9], off offset:1952
	s_waitcnt vmcnt(0)
	v_mul_f64 v[8:9], v[38:39], v[14:15]
	scratch_store_b128 off, v[12:15], off offset:2084 ; 16-byte Folded Spill
	v_fma_f64 v[122:123], v[36:37], v[12:13], -v[8:9]
	v_mul_f64 v[8:9], v[36:37], v[14:15]
	s_delay_alu instid0(VALU_DEP_1) | instskip(SKIP_1) | instid1(VALU_DEP_1)
	v_fma_f64 v[120:121], v[38:39], v[12:13], v[8:9]
	v_add_co_u32 v8, s0, 0x17a0, v10
	v_add_co_ci_u32_e64 v9, s0, 0, v11, s0
	global_load_b128 v[12:15], v[8:9], off offset:16
	s_waitcnt vmcnt(0)
	v_mul_f64 v[10:11], v[42:43], v[14:15]
	scratch_store_b128 off, v[12:15], off offset:2100 ; 16-byte Folded Spill
	v_fma_f64 v[124:125], v[40:41], v[12:13], -v[10:11]
	v_mul_f64 v[10:11], v[40:41], v[14:15]
	s_delay_alu instid0(VALU_DEP_1) | instskip(SKIP_3) | instid1(VALU_DEP_1)
	v_fma_f64 v[126:127], v[42:43], v[12:13], v[10:11]
	global_load_b128 v[40:43], v[8:9], off offset:32
	s_waitcnt vmcnt(0)
	v_mul_f64 v[10:11], v[46:47], v[42:43]
	v_fma_f64 v[130:131], v[44:45], v[40:41], -v[10:11]
	v_mul_f64 v[10:11], v[44:45], v[42:43]
	s_delay_alu instid0(VALU_DEP_2) | instskip(NEXT) | instid1(VALU_DEP_2)
	v_add_f64 v[196:197], v[124:125], -v[130:131]
	v_fma_f64 v[128:129], v[46:47], v[40:41], v[10:11]
	global_load_b128 v[44:47], v[8:9], off offset:48
	v_add_f64 v[10:11], v[4:5], -v[62:63]
	s_waitcnt vmcnt(0)
	v_mul_f64 v[8:9], v[50:51], v[46:47]
	s_delay_alu instid0(VALU_DEP_1) | instskip(SKIP_2) | instid1(VALU_DEP_3)
	v_fma_f64 v[132:133], v[48:49], v[44:45], -v[8:9]
	v_mul_f64 v[8:9], v[48:49], v[46:47]
	v_add_f64 v[48:49], v[70:71], -v[68:69]
	v_add_f64 v[198:199], v[122:123], -v[132:133]
	s_delay_alu instid0(VALU_DEP_3) | instskip(SKIP_1) | instid1(VALU_DEP_1)
	v_fma_f64 v[134:135], v[50:51], v[44:45], v[8:9]
	v_add_f64 v[8:9], v[0:1], -v[6:7]
	v_add_f64 v[8:9], v[8:9], v[10:11]
	v_add_f64 v[10:11], v[2:3], -v[60:61]
	s_delay_alu instid0(VALU_DEP_1) | instskip(SKIP_1) | instid1(VALU_DEP_1)
	v_add_f64 v[10:11], v[10:11], v[48:49]
	v_add_f64 v[48:49], v[6:7], v[62:63]
	v_fma_f64 v[56:57], v[48:49], -0.5, v[52:53]
	v_add_f64 v[48:49], v[60:61], v[68:69]
	s_delay_alu instid0(VALU_DEP_1) | instskip(NEXT) | instid1(VALU_DEP_3)
	v_fma_f64 v[58:59], v[48:49], -0.5, v[54:55]
	v_fma_f64 v[48:49], v[72:73], s[16:17], v[56:57]
	v_fma_f64 v[56:57], v[72:73], s[18:19], v[56:57]
	s_delay_alu instid0(VALU_DEP_3) | instskip(SKIP_1) | instid1(VALU_DEP_4)
	v_fma_f64 v[50:51], v[92:93], s[18:19], v[58:59]
	v_fma_f64 v[58:59], v[92:93], s[16:17], v[58:59]
	v_fma_f64 v[48:49], v[74:75], s[12:13], v[48:49]
	s_delay_alu instid0(VALU_DEP_4) | instskip(NEXT) | instid1(VALU_DEP_4)
	v_fma_f64 v[56:57], v[74:75], s[14:15], v[56:57]
	v_fma_f64 v[50:51], v[94:95], s[14:15], v[50:51]
	s_delay_alu instid0(VALU_DEP_4) | instskip(NEXT) | instid1(VALU_DEP_4)
	v_fma_f64 v[58:59], v[94:95], s[12:13], v[58:59]
	v_fma_f64 v[48:49], v[8:9], s[20:21], v[48:49]
	s_delay_alu instid0(VALU_DEP_4) | instskip(SKIP_4) | instid1(VALU_DEP_4)
	v_fma_f64 v[56:57], v[8:9], s[20:21], v[56:57]
	v_add_f64 v[8:9], v[0:1], v[4:5]
	v_fma_f64 v[50:51], v[10:11], s[20:21], v[50:51]
	v_fma_f64 v[58:59], v[10:11], s[20:21], v[58:59]
	v_add_f64 v[10:11], v[2:3], v[70:71]
	v_fma_f64 v[8:9], v[8:9], -0.5, v[52:53]
	v_add_f64 v[52:53], v[52:53], v[0:1]
	v_add_f64 v[0:1], v[6:7], -v[0:1]
	s_delay_alu instid0(VALU_DEP_4) | instskip(SKIP_3) | instid1(VALU_DEP_3)
	v_fma_f64 v[10:11], v[10:11], -0.5, v[54:55]
	v_add_f64 v[54:55], v[54:55], v[2:3]
	v_add_f64 v[2:3], v[60:61], -v[2:3]
	v_add_f64 v[6:7], v[52:53], v[6:7]
	v_add_f64 v[52:53], v[54:55], v[60:61]
	v_add_f64 v[54:55], v[62:63], -v[4:5]
	s_delay_alu instid0(VALU_DEP_3) | instskip(NEXT) | instid1(VALU_DEP_3)
	v_add_f64 v[6:7], v[6:7], v[62:63]
	v_add_f64 v[52:53], v[52:53], v[68:69]
	s_delay_alu instid0(VALU_DEP_3) | instskip(NEXT) | instid1(VALU_DEP_3)
	v_add_f64 v[0:1], v[0:1], v[54:55]
	v_add_f64 v[64:65], v[6:7], v[4:5]
	v_add_f64 v[4:5], v[68:69], -v[70:71]
	v_fma_f64 v[6:7], v[74:75], s[18:19], v[8:9]
	v_fma_f64 v[8:9], v[74:75], s[16:17], v[8:9]
	v_add_f64 v[66:67], v[52:53], v[70:71]
	v_fma_f64 v[52:53], v[94:95], s[16:17], v[10:11]
	v_fma_f64 v[10:11], v[94:95], s[18:19], v[10:11]
	v_add_f64 v[2:3], v[2:3], v[4:5]
	v_fma_f64 v[4:5], v[72:73], s[12:13], v[6:7]
	v_fma_f64 v[6:7], v[72:73], s[14:15], v[8:9]
	;; [unrolled: 1-line block ×4, first 2 shown]
	ds_load_b128 v[92:95], v226 offset:880
	v_fma_f64 v[60:61], v[0:1], s[20:21], v[4:5]
	v_fma_f64 v[52:53], v[0:1], s[20:21], v[6:7]
	v_add_f64 v[0:1], v[78:79], -v[82:83]
	v_add_f64 v[4:5], v[90:91], -v[84:85]
	v_add_f64 v[6:7], v[80:81], v[84:85]
	v_fma_f64 v[62:63], v[2:3], s[20:21], v[8:9]
	v_fma_f64 v[54:55], v[2:3], s[20:21], v[10:11]
	v_add_f64 v[2:3], v[88:89], -v[86:87]
	v_add_f64 v[8:9], v[76:77], -v[90:91]
	;; [unrolled: 1-line block ×3, first 2 shown]
	s_waitcnt lgkmcnt(0)
	v_fma_f64 v[6:7], v[6:7], -0.5, v[94:95]
	s_delay_alu instid0(VALU_DEP_4) | instskip(SKIP_1) | instid1(VALU_DEP_3)
	v_add_f64 v[0:1], v[0:1], v[2:3]
	v_add_f64 v[2:3], v[76:77], -v[80:81]
	v_fma_f64 v[70:71], v[112:113], s[18:19], v[6:7]
	v_fma_f64 v[6:7], v[112:113], s[16:17], v[6:7]
	s_delay_alu instid0(VALU_DEP_3) | instskip(SKIP_1) | instid1(VALU_DEP_4)
	v_add_f64 v[2:3], v[2:3], v[4:5]
	v_add_f64 v[4:5], v[82:83], v[86:87]
	v_fma_f64 v[70:71], v[114:115], s[14:15], v[70:71]
	s_delay_alu instid0(VALU_DEP_4) | instskip(NEXT) | instid1(VALU_DEP_3)
	v_fma_f64 v[6:7], v[114:115], s[12:13], v[6:7]
	v_fma_f64 v[4:5], v[4:5], -0.5, v[92:93]
	s_delay_alu instid0(VALU_DEP_3) | instskip(NEXT) | instid1(VALU_DEP_3)
	v_fma_f64 v[70:71], v[2:3], s[20:21], v[70:71]
	v_fma_f64 v[74:75], v[2:3], s[20:21], v[6:7]
	v_add_f64 v[6:7], v[94:95], v[76:77]
	v_add_f64 v[2:3], v[76:77], v[90:91]
	v_add_f64 v[76:77], v[80:81], -v[76:77]
	v_fma_f64 v[68:69], v[8:9], s[16:17], v[4:5]
	v_fma_f64 v[4:5], v[8:9], s[18:19], v[4:5]
	v_add_f64 v[6:7], v[6:7], v[80:81]
	v_fma_f64 v[2:3], v[2:3], -0.5, v[94:95]
	s_delay_alu instid0(VALU_DEP_4) | instskip(NEXT) | instid1(VALU_DEP_4)
	v_fma_f64 v[68:69], v[10:11], s[12:13], v[68:69]
	v_fma_f64 v[4:5], v[10:11], s[14:15], v[4:5]
	s_delay_alu instid0(VALU_DEP_4) | instskip(NEXT) | instid1(VALU_DEP_3)
	v_add_f64 v[6:7], v[6:7], v[84:85]
	v_fma_f64 v[68:69], v[0:1], s[20:21], v[68:69]
	s_delay_alu instid0(VALU_DEP_3) | instskip(SKIP_3) | instid1(VALU_DEP_3)
	v_fma_f64 v[72:73], v[0:1], s[20:21], v[4:5]
	v_add_f64 v[4:5], v[92:93], v[78:79]
	v_add_f64 v[0:1], v[78:79], v[88:89]
	v_add_f64 v[78:79], v[82:83], -v[78:79]
	v_add_f64 v[4:5], v[4:5], v[82:83]
	s_delay_alu instid0(VALU_DEP_3) | instskip(SKIP_1) | instid1(VALU_DEP_3)
	v_fma_f64 v[0:1], v[0:1], -0.5, v[92:93]
	v_add_f64 v[82:83], v[6:7], v[90:91]
	v_add_f64 v[4:5], v[4:5], v[86:87]
	v_add_f64 v[86:87], v[86:87], -v[88:89]
	s_delay_alu instid0(VALU_DEP_4)
	v_fma_f64 v[6:7], v[10:11], s[18:19], v[0:1]
	v_fma_f64 v[0:1], v[10:11], s[16:17], v[0:1]
	;; [unrolled: 1-line block ×4, first 2 shown]
	v_add_f64 v[80:81], v[4:5], v[88:89]
	v_add_f64 v[4:5], v[84:85], -v[90:91]
	v_add_f64 v[78:79], v[78:79], v[86:87]
	v_fma_f64 v[6:7], v[8:9], s[12:13], v[6:7]
	v_fma_f64 v[0:1], v[8:9], s[14:15], v[0:1]
	;; [unrolled: 1-line block ×4, first 2 shown]
	ds_load_b128 v[112:115], v226 offset:1760
	v_add_f64 v[10:11], v[100:101], -v[104:105]
	v_add_f64 v[4:5], v[76:77], v[4:5]
	v_fma_f64 v[84:85], v[78:79], s[20:21], v[6:7]
	v_fma_f64 v[76:77], v[78:79], s[20:21], v[0:1]
	v_add_f64 v[0:1], v[98:99], -v[102:103]
	v_add_f64 v[6:7], v[100:101], v[104:105]
	v_fma_f64 v[78:79], v[4:5], s[20:21], v[2:3]
	v_add_f64 v[2:3], v[108:109], -v[106:107]
	v_fma_f64 v[86:87], v[4:5], s[20:21], v[8:9]
	v_add_f64 v[4:5], v[110:111], -v[104:105]
	v_add_f64 v[8:9], v[96:97], -v[110:111]
	s_waitcnt lgkmcnt(0)
	v_fma_f64 v[6:7], v[6:7], -0.5, v[114:115]
	v_add_f64 v[0:1], v[0:1], v[2:3]
	v_add_f64 v[2:3], v[96:97], -v[100:101]
	s_delay_alu instid0(VALU_DEP_3) | instskip(SKIP_1) | instid1(VALU_DEP_3)
	v_fma_f64 v[90:91], v[176:177], s[18:19], v[6:7]
	v_fma_f64 v[6:7], v[176:177], s[16:17], v[6:7]
	v_add_f64 v[2:3], v[2:3], v[4:5]
	v_add_f64 v[4:5], v[102:103], v[106:107]
	s_delay_alu instid0(VALU_DEP_4) | instskip(NEXT) | instid1(VALU_DEP_4)
	v_fma_f64 v[90:91], v[178:179], s[14:15], v[90:91]
	v_fma_f64 v[6:7], v[178:179], s[12:13], v[6:7]
	s_delay_alu instid0(VALU_DEP_3) | instskip(NEXT) | instid1(VALU_DEP_3)
	v_fma_f64 v[4:5], v[4:5], -0.5, v[112:113]
	v_fma_f64 v[94:95], v[2:3], s[20:21], v[90:91]
	s_delay_alu instid0(VALU_DEP_3) | instskip(SKIP_4) | instid1(VALU_DEP_4)
	v_fma_f64 v[90:91], v[2:3], s[20:21], v[6:7]
	v_add_f64 v[6:7], v[114:115], v[96:97]
	v_add_f64 v[2:3], v[96:97], v[110:111]
	v_fma_f64 v[88:89], v[8:9], s[16:17], v[4:5]
	v_fma_f64 v[4:5], v[8:9], s[18:19], v[4:5]
	v_add_f64 v[6:7], v[6:7], v[100:101]
	s_delay_alu instid0(VALU_DEP_4) | instskip(SKIP_4) | instid1(VALU_DEP_3)
	v_fma_f64 v[2:3], v[2:3], -0.5, v[114:115]
	v_add_f64 v[100:101], v[100:101], -v[96:97]
	v_fma_f64 v[88:89], v[10:11], s[12:13], v[88:89]
	v_fma_f64 v[4:5], v[10:11], s[14:15], v[4:5]
	v_add_f64 v[6:7], v[6:7], v[104:105]
	v_fma_f64 v[92:93], v[0:1], s[20:21], v[88:89]
	s_delay_alu instid0(VALU_DEP_3) | instskip(SKIP_2) | instid1(VALU_DEP_2)
	v_fma_f64 v[88:89], v[0:1], s[20:21], v[4:5]
	v_add_f64 v[4:5], v[112:113], v[98:99]
	v_add_f64 v[0:1], v[98:99], v[108:109]
	v_add_f64 v[4:5], v[4:5], v[102:103]
	s_delay_alu instid0(VALU_DEP_2)
	v_fma_f64 v[0:1], v[0:1], -0.5, v[112:113]
	v_add_f64 v[112:113], v[102:103], -v[98:99]
	v_add_f64 v[102:103], v[106:107], -v[108:109]
	v_add_f64 v[98:99], v[6:7], v[110:111]
	v_add_f64 v[4:5], v[4:5], v[106:107]
	v_fma_f64 v[6:7], v[10:11], s[18:19], v[0:1]
	v_fma_f64 v[0:1], v[10:11], s[16:17], v[0:1]
	;; [unrolled: 1-line block ×4, first 2 shown]
	v_add_f64 v[96:97], v[4:5], v[108:109]
	v_add_f64 v[4:5], v[104:105], -v[110:111]
	v_add_f64 v[104:105], v[112:113], v[102:103]
	v_fma_f64 v[6:7], v[8:9], s[12:13], v[6:7]
	v_fma_f64 v[0:1], v[8:9], s[14:15], v[0:1]
	;; [unrolled: 1-line block ×4, first 2 shown]
	ds_load_b128 v[176:179], v226 offset:2640
	v_add_f64 v[10:11], v[168:169], -v[170:171]
	v_add_f64 v[4:5], v[100:101], v[4:5]
	v_fma_f64 v[100:101], v[104:105], s[20:21], v[6:7]
	v_fma_f64 v[104:105], v[104:105], s[20:21], v[0:1]
	v_add_f64 v[0:1], v[118:119], -v[172:173]
	v_add_f64 v[6:7], v[168:169], v[170:171]
	v_fma_f64 v[106:107], v[4:5], s[20:21], v[2:3]
	v_add_f64 v[2:3], v[180:181], -v[174:175]
	v_fma_f64 v[102:103], v[4:5], s[20:21], v[8:9]
	v_add_f64 v[4:5], v[182:183], -v[170:171]
	v_add_f64 v[8:9], v[116:117], -v[182:183]
	s_waitcnt lgkmcnt(0)
	v_fma_f64 v[6:7], v[6:7], -0.5, v[178:179]
	v_add_f64 v[0:1], v[0:1], v[2:3]
	v_add_f64 v[2:3], v[116:117], -v[168:169]
	s_delay_alu instid0(VALU_DEP_3) | instskip(SKIP_1) | instid1(VALU_DEP_3)
	v_fma_f64 v[110:111], v[184:185], s[18:19], v[6:7]
	v_fma_f64 v[6:7], v[184:185], s[16:17], v[6:7]
	v_add_f64 v[2:3], v[2:3], v[4:5]
	v_add_f64 v[4:5], v[172:173], v[174:175]
	s_delay_alu instid0(VALU_DEP_4) | instskip(NEXT) | instid1(VALU_DEP_4)
	v_fma_f64 v[110:111], v[186:187], s[14:15], v[110:111]
	v_fma_f64 v[6:7], v[186:187], s[12:13], v[6:7]
	s_delay_alu instid0(VALU_DEP_3) | instskip(NEXT) | instid1(VALU_DEP_3)
	v_fma_f64 v[4:5], v[4:5], -0.5, v[176:177]
	v_fma_f64 v[110:111], v[2:3], s[20:21], v[110:111]
	s_delay_alu instid0(VALU_DEP_3)
	v_fma_f64 v[114:115], v[2:3], s[20:21], v[6:7]
	v_add_f64 v[6:7], v[178:179], v[116:117]
	v_add_f64 v[2:3], v[116:117], v[182:183]
	v_add_f64 v[116:117], v[168:169], -v[116:117]
	v_fma_f64 v[108:109], v[8:9], s[16:17], v[4:5]
	v_fma_f64 v[4:5], v[8:9], s[18:19], v[4:5]
	v_add_f64 v[6:7], v[6:7], v[168:169]
	v_fma_f64 v[2:3], v[2:3], -0.5, v[178:179]
	v_add_f64 v[168:169], v[174:175], -v[180:181]
	v_fma_f64 v[108:109], v[10:11], s[12:13], v[108:109]
	v_fma_f64 v[4:5], v[10:11], s[14:15], v[4:5]
	v_add_f64 v[6:7], v[6:7], v[170:171]
	s_delay_alu instid0(VALU_DEP_3) | instskip(NEXT) | instid1(VALU_DEP_3)
	v_fma_f64 v[108:109], v[0:1], s[20:21], v[108:109]
	v_fma_f64 v[112:113], v[0:1], s[20:21], v[4:5]
	v_add_f64 v[4:5], v[176:177], v[118:119]
	v_add_f64 v[0:1], v[118:119], v[180:181]
	v_add_f64 v[118:119], v[172:173], -v[118:119]
	s_delay_alu instid0(VALU_DEP_3) | instskip(NEXT) | instid1(VALU_DEP_3)
	v_add_f64 v[4:5], v[4:5], v[172:173]
	v_fma_f64 v[0:1], v[0:1], -0.5, v[176:177]
	s_delay_alu instid0(VALU_DEP_3)
	v_add_f64 v[118:119], v[118:119], v[168:169]
	ds_load_b128 v[176:179], v226 offset:3520
	v_add_f64 v[4:5], v[4:5], v[174:175]
	v_add_f64 v[174:175], v[6:7], v[182:183]
	v_fma_f64 v[6:7], v[10:11], s[18:19], v[0:1]
	v_fma_f64 v[0:1], v[10:11], s[16:17], v[0:1]
	;; [unrolled: 1-line block ×4, first 2 shown]
	v_add_f64 v[172:173], v[4:5], v[180:181]
	v_add_f64 v[4:5], v[170:171], -v[182:183]
	v_fma_f64 v[6:7], v[8:9], s[12:13], v[6:7]
	v_fma_f64 v[0:1], v[8:9], s[14:15], v[0:1]
	;; [unrolled: 1-line block ×4, first 2 shown]
	v_add_f64 v[180:181], v[156:157], v[158:159]
	v_add_f64 v[10:11], v[156:157], -v[158:159]
	v_add_f64 v[4:5], v[116:117], v[4:5]
	v_fma_f64 v[168:169], v[118:119], s[20:21], v[6:7]
	v_fma_f64 v[116:117], v[118:119], s[20:21], v[0:1]
	v_add_f64 v[0:1], v[154:155], -v[160:161]
	v_add_f64 v[6:7], v[152:153], -v[164:165]
	s_waitcnt lgkmcnt(0)
	v_fma_f64 v[184:185], v[180:181], -0.5, v[178:179]
	v_fma_f64 v[118:119], v[4:5], s[20:21], v[2:3]
	v_add_f64 v[2:3], v[166:167], -v[162:163]
	v_fma_f64 v[170:171], v[4:5], s[20:21], v[8:9]
	v_add_f64 v[4:5], v[164:165], -v[158:159]
	v_fma_f64 v[180:181], v[188:189], s[18:19], v[184:185]
	s_delay_alu instid0(VALU_DEP_4) | instskip(SKIP_1) | instid1(VALU_DEP_3)
	v_add_f64 v[0:1], v[0:1], v[2:3]
	v_add_f64 v[2:3], v[152:153], -v[156:157]
	v_fma_f64 v[182:183], v[190:191], s[14:15], v[180:181]
	s_delay_alu instid0(VALU_DEP_2) | instskip(SKIP_1) | instid1(VALU_DEP_2)
	v_add_f64 v[2:3], v[2:3], v[4:5]
	v_add_f64 v[4:5], v[160:161], v[162:163]
	v_fma_f64 v[182:183], v[2:3], s[20:21], v[182:183]
	s_delay_alu instid0(VALU_DEP_2) | instskip(NEXT) | instid1(VALU_DEP_1)
	v_fma_f64 v[4:5], v[4:5], -0.5, v[176:177]
	v_fma_f64 v[8:9], v[6:7], s[16:17], v[4:5]
	v_fma_f64 v[4:5], v[6:7], s[18:19], v[4:5]
	s_delay_alu instid0(VALU_DEP_2) | instskip(NEXT) | instid1(VALU_DEP_2)
	v_fma_f64 v[8:9], v[10:11], s[12:13], v[8:9]
	v_fma_f64 v[4:5], v[10:11], s[14:15], v[4:5]
	s_delay_alu instid0(VALU_DEP_2) | instskip(SKIP_1) | instid1(VALU_DEP_3)
	v_fma_f64 v[180:181], v[0:1], s[20:21], v[8:9]
	v_fma_f64 v[8:9], v[188:189], s[16:17], v[184:185]
	;; [unrolled: 1-line block ×3, first 2 shown]
	v_add_f64 v[4:5], v[176:177], v[154:155]
	v_add_f64 v[0:1], v[154:155], v[166:167]
	v_add_f64 v[154:155], v[160:161], -v[154:155]
	v_fma_f64 v[8:9], v[190:191], s[12:13], v[8:9]
	s_delay_alu instid0(VALU_DEP_4) | instskip(NEXT) | instid1(VALU_DEP_4)
	v_add_f64 v[4:5], v[4:5], v[160:161]
	v_fma_f64 v[0:1], v[0:1], -0.5, v[176:177]
	s_delay_alu instid0(VALU_DEP_3)
	v_fma_f64 v[186:187], v[2:3], s[20:21], v[8:9]
	v_add_f64 v[8:9], v[178:179], v[152:153]
	v_add_f64 v[2:3], v[152:153], v[164:165]
	;; [unrolled: 1-line block ×3, first 2 shown]
	v_fma_f64 v[176:177], v[10:11], s[18:19], v[0:1]
	v_fma_f64 v[0:1], v[10:11], s[16:17], v[0:1]
	v_add_f64 v[10:11], v[162:163], -v[166:167]
	v_add_f64 v[8:9], v[8:9], v[156:157]
	v_fma_f64 v[2:3], v[2:3], -0.5, v[178:179]
	v_add_f64 v[160:161], v[4:5], v[166:167]
	v_add_f64 v[4:5], v[156:157], -v[152:153]
	v_fma_f64 v[0:1], v[6:7], s[14:15], v[0:1]
	v_add_f64 v[10:11], v[154:155], v[10:11]
	v_fma_f64 v[154:155], v[6:7], s[12:13], v[176:177]
	v_add_f64 v[176:177], v[138:139], v[142:143]
	v_add_f64 v[8:9], v[8:9], v[158:159]
	v_fma_f64 v[152:153], v[190:191], s[16:17], v[2:3]
	v_fma_f64 v[2:3], v[190:191], s[18:19], v[2:3]
	;; [unrolled: 1-line block ×3, first 2 shown]
	v_add_f64 v[0:1], v[140:141], -v[144:145]
	v_add_f64 v[162:163], v[8:9], v[164:165]
	v_add_f64 v[8:9], v[158:159], -v[164:165]
	v_fma_f64 v[2:3], v[188:189], s[12:13], v[2:3]
	v_fma_f64 v[6:7], v[188:189], s[14:15], v[152:153]
	;; [unrolled: 1-line block ×3, first 2 shown]
	ds_load_b128 v[164:167], v226 offset:4400
	v_add_f64 v[10:11], v[138:139], -v[142:143]
	s_waitcnt lgkmcnt(0)
	v_fma_f64 v[188:189], v[176:177], -0.5, v[166:167]
	v_add_f64 v[4:5], v[4:5], v[8:9]
	s_delay_alu instid0(VALU_DEP_2) | instskip(NEXT) | instid1(VALU_DEP_2)
	v_fma_f64 v[176:177], v[192:193], s[18:19], v[188:189]
	v_fma_f64 v[158:159], v[4:5], s[20:21], v[2:3]
	v_add_f64 v[2:3], v[150:151], -v[146:147]
	v_fma_f64 v[154:155], v[4:5], s[20:21], v[6:7]
	v_add_f64 v[4:5], v[148:149], -v[142:143]
	v_add_f64 v[6:7], v[136:137], -v[148:149]
	v_fma_f64 v[178:179], v[194:195], s[14:15], v[176:177]
	v_add_f64 v[0:1], v[0:1], v[2:3]
	v_add_f64 v[2:3], v[136:137], -v[138:139]
	s_delay_alu instid0(VALU_DEP_1) | instskip(SKIP_1) | instid1(VALU_DEP_2)
	v_add_f64 v[2:3], v[2:3], v[4:5]
	v_add_f64 v[4:5], v[144:145], v[146:147]
	v_fma_f64 v[178:179], v[2:3], s[20:21], v[178:179]
	s_delay_alu instid0(VALU_DEP_2) | instskip(NEXT) | instid1(VALU_DEP_1)
	v_fma_f64 v[4:5], v[4:5], -0.5, v[164:165]
	v_fma_f64 v[8:9], v[6:7], s[16:17], v[4:5]
	v_fma_f64 v[4:5], v[6:7], s[18:19], v[4:5]
	s_delay_alu instid0(VALU_DEP_2) | instskip(NEXT) | instid1(VALU_DEP_2)
	v_fma_f64 v[8:9], v[10:11], s[12:13], v[8:9]
	v_fma_f64 v[4:5], v[10:11], s[14:15], v[4:5]
	s_delay_alu instid0(VALU_DEP_2) | instskip(SKIP_1) | instid1(VALU_DEP_3)
	v_fma_f64 v[176:177], v[0:1], s[20:21], v[8:9]
	v_fma_f64 v[8:9], v[192:193], s[16:17], v[188:189]
	;; [unrolled: 1-line block ×3, first 2 shown]
	v_add_f64 v[4:5], v[164:165], v[140:141]
	v_add_f64 v[0:1], v[140:141], v[150:151]
	v_add_f64 v[140:141], v[144:145], -v[140:141]
	v_fma_f64 v[8:9], v[194:195], s[12:13], v[8:9]
	s_delay_alu instid0(VALU_DEP_4) | instskip(NEXT) | instid1(VALU_DEP_4)
	v_add_f64 v[4:5], v[4:5], v[144:145]
	v_fma_f64 v[0:1], v[0:1], -0.5, v[164:165]
	s_delay_alu instid0(VALU_DEP_3)
	v_fma_f64 v[190:191], v[2:3], s[20:21], v[8:9]
	v_add_f64 v[8:9], v[166:167], v[136:137]
	v_add_f64 v[2:3], v[136:137], v[148:149]
	;; [unrolled: 1-line block ×3, first 2 shown]
	v_fma_f64 v[164:165], v[10:11], s[18:19], v[0:1]
	v_fma_f64 v[0:1], v[10:11], s[16:17], v[0:1]
	v_add_f64 v[10:11], v[146:147], -v[150:151]
	v_add_f64 v[8:9], v[8:9], v[138:139]
	v_fma_f64 v[2:3], v[2:3], -0.5, v[166:167]
	v_add_f64 v[144:145], v[4:5], v[150:151]
	v_add_f64 v[4:5], v[138:139], -v[136:137]
	v_fma_f64 v[0:1], v[6:7], s[14:15], v[0:1]
	v_add_f64 v[10:11], v[140:141], v[10:11]
	v_fma_f64 v[138:139], v[6:7], s[12:13], v[164:165]
	v_add_f64 v[8:9], v[8:9], v[142:143]
	v_fma_f64 v[136:137], v[194:195], s[16:17], v[2:3]
	v_fma_f64 v[2:3], v[194:195], s[18:19], v[2:3]
	;; [unrolled: 1-line block ×3, first 2 shown]
	v_add_f64 v[0:1], v[124:125], -v[122:123]
	v_add_f64 v[146:147], v[8:9], v[148:149]
	v_add_f64 v[8:9], v[142:143], -v[148:149]
	v_fma_f64 v[2:3], v[192:193], s[12:13], v[2:3]
	v_fma_f64 v[6:7], v[192:193], s[14:15], v[136:137]
	v_fma_f64 v[136:137], v[10:11], s[20:21], v[138:139]
	ds_load_b128 v[148:151], v226 offset:5280
	v_add_f64 v[10:11], v[120:121], -v[134:135]
	v_add_f64 v[4:5], v[4:5], v[8:9]
	v_add_f64 v[8:9], v[126:127], -v[128:129]
	s_delay_alu instid0(VALU_DEP_2) | instskip(SKIP_4) | instid1(VALU_DEP_4)
	v_fma_f64 v[142:143], v[4:5], s[20:21], v[2:3]
	v_add_f64 v[2:3], v[130:131], -v[132:133]
	v_fma_f64 v[138:139], v[4:5], s[20:21], v[6:7]
	v_add_f64 v[4:5], v[128:129], -v[134:135]
	v_add_f64 v[6:7], v[120:121], v[134:135]
	v_add_f64 v[0:1], v[0:1], v[2:3]
	v_add_f64 v[2:3], v[126:127], -v[120:121]
	s_waitcnt lgkmcnt(0)
	s_delay_alu instid0(VALU_DEP_3) | instskip(NEXT) | instid1(VALU_DEP_2)
	v_fma_f64 v[6:7], v[6:7], -0.5, v[150:151]
	v_add_f64 v[2:3], v[2:3], v[4:5]
	v_add_f64 v[4:5], v[122:123], v[132:133]
	s_delay_alu instid0(VALU_DEP_3) | instskip(SKIP_1) | instid1(VALU_DEP_3)
	v_fma_f64 v[166:167], v[196:197], s[16:17], v[6:7]
	v_fma_f64 v[6:7], v[196:197], s[18:19], v[6:7]
	v_fma_f64 v[4:5], v[4:5], -0.5, v[148:149]
	s_delay_alu instid0(VALU_DEP_3) | instskip(NEXT) | instid1(VALU_DEP_3)
	v_fma_f64 v[166:167], v[198:199], s[14:15], v[166:167]
	v_fma_f64 v[6:7], v[198:199], s[12:13], v[6:7]
	s_delay_alu instid0(VALU_DEP_3) | instskip(SKIP_1) | instid1(VALU_DEP_3)
	v_fma_f64 v[164:165], v[8:9], s[18:19], v[4:5]
	v_fma_f64 v[4:5], v[8:9], s[16:17], v[4:5]
	v_fma_f64 v[194:195], v[2:3], s[20:21], v[6:7]
	v_add_f64 v[6:7], v[150:151], v[120:121]
	v_fma_f64 v[166:167], v[2:3], s[20:21], v[166:167]
	v_add_f64 v[2:3], v[126:127], v[128:129]
	v_fma_f64 v[164:165], v[10:11], s[12:13], v[164:165]
	v_fma_f64 v[4:5], v[10:11], s[14:15], v[4:5]
	v_add_f64 v[6:7], v[6:7], v[126:127]
	s_delay_alu instid0(VALU_DEP_4) | instskip(NEXT) | instid1(VALU_DEP_4)
	v_fma_f64 v[2:3], v[2:3], -0.5, v[150:151]
	v_fma_f64 v[164:165], v[0:1], s[20:21], v[164:165]
	s_delay_alu instid0(VALU_DEP_4) | instskip(SKIP_3) | instid1(VALU_DEP_3)
	v_fma_f64 v[192:193], v[0:1], s[20:21], v[4:5]
	v_add_f64 v[4:5], v[148:149], v[122:123]
	v_add_f64 v[0:1], v[124:125], v[130:131]
	;; [unrolled: 1-line block ×4, first 2 shown]
	s_delay_alu instid0(VALU_DEP_3)
	v_fma_f64 v[0:1], v[0:1], -0.5, v[148:149]
	v_add_f64 v[148:149], v[122:123], -v[124:125]
	v_add_f64 v[124:125], v[120:121], -v[126:127]
	;; [unrolled: 1-line block ×3, first 2 shown]
	v_add_f64 v[122:123], v[6:7], v[134:135]
	v_add_f64 v[4:5], v[4:5], v[130:131]
	v_fma_f64 v[6:7], v[10:11], s[16:17], v[0:1]
	v_fma_f64 v[0:1], v[10:11], s[18:19], v[0:1]
	;; [unrolled: 1-line block ×4, first 2 shown]
	s_mov_b32 s16, 0x37e14327
	s_mov_b32 s17, 0x3fe948f6
	;; [unrolled: 1-line block ×4, first 2 shown]
	v_add_f64 v[120:121], v[4:5], v[132:133]
	v_add_f64 v[4:5], v[134:135], -v[128:129]
	v_add_f64 v[128:129], v[148:149], v[126:127]
	v_fma_f64 v[6:7], v[8:9], s[12:13], v[6:7]
	v_fma_f64 v[0:1], v[8:9], s[14:15], v[0:1]
	;; [unrolled: 1-line block ×4, first 2 shown]
	s_mov_b32 s14, 0xb247c609
	s_mov_b32 s15, 0xbfd5d0dc
	;; [unrolled: 1-line block ×4, first 2 shown]
	v_add_f64 v[4:5], v[124:125], v[4:5]
	v_fma_f64 v[124:125], v[128:129], s[20:21], v[6:7]
	v_fma_f64 v[128:129], v[128:129], s[20:21], v[0:1]
	v_lshlrev_b32_e32 v0, 4, v200
	s_delay_alu instid0(VALU_DEP_4) | instskip(SKIP_1) | instid1(VALU_DEP_3)
	v_fma_f64 v[126:127], v[4:5], s[20:21], v[8:9]
	v_fma_f64 v[130:131], v[4:5], s[20:21], v[2:3]
	v_add_co_u32 v4, s0, s8, v0
	s_delay_alu instid0(VALU_DEP_1)
	v_add_co_ci_u32_e64 v5, null, s9, 0, s0
	ds_store_b128 v226, v[64:67]
	ds_store_b128 v226, v[80:83] offset:880
	ds_store_b128 v226, v[60:63] offset:12320
	;; [unrolled: 1-line block ×34, first 2 shown]
	v_add_co_u32 v0, s0, 0x7000, v4
	s_delay_alu instid0(VALU_DEP_1)
	v_add_co_ci_u32_e64 v1, s0, 0, v5, s0
	s_waitcnt lgkmcnt(0)
	s_waitcnt_vscnt null, 0x0
	s_barrier
	buffer_gl0_inv
	global_load_b128 v[50:53], v[0:1], off offset:2128
	ds_load_b128 v[54:57], v226
	ds_load_b128 v[96:99], v226 offset:880
	v_add_co_u32 v60, s0, 0x8000, v4
	s_delay_alu instid0(VALU_DEP_1)
	v_add_co_ci_u32_e64 v61, s0, 0, v5, s0
	ds_load_b128 v[66:69], v226 offset:8800
	ds_load_b128 v[102:105], v226 offset:9680
	;; [unrolled: 1-line block ×23, first 2 shown]
	s_mov_b32 s21, 0x3fd5d0dc
	s_mov_b32 s20, s14
	;; [unrolled: 1-line block ×4, first 2 shown]
	ds_load_b128 v[138:141], v226 offset:6160
	ds_load_b128 v[180:183], v226 offset:7040
	;; [unrolled: 1-line block ×3, first 2 shown]
	s_waitcnt vmcnt(0) lgkmcnt(27)
	v_mul_f64 v[0:1], v[56:57], v[52:53]
	v_mul_f64 v[2:3], v[54:55], v[52:53]
	s_delay_alu instid0(VALU_DEP_2)
	v_fma_f64 v[48:49], v[54:55], v[50:51], -v[0:1]
	global_load_b128 v[52:55], v[60:61], off offset:2432
	v_fma_f64 v[50:51], v[56:57], v[50:51], v[2:3]
	ds_load_b128 v[56:59], v226 offset:4400
	s_waitcnt vmcnt(0) lgkmcnt(0)
	v_mul_f64 v[0:1], v[58:59], v[54:55]
	v_mul_f64 v[2:3], v[56:57], v[54:55]
	s_delay_alu instid0(VALU_DEP_2) | instskip(SKIP_1) | instid1(VALU_DEP_1)
	v_fma_f64 v[54:55], v[56:57], v[52:53], -v[0:1]
	v_add_co_u32 v0, s0, 0x9000, v4
	v_add_co_ci_u32_e64 v1, s0, 0, v5, s0
	s_delay_alu instid0(VALU_DEP_4) | instskip(SKIP_4) | instid1(VALU_DEP_2)
	v_fma_f64 v[56:57], v[58:59], v[52:53], v[2:3]
	global_load_b128 v[62:65], v[0:1], off offset:2736
	s_waitcnt vmcnt(0)
	v_mul_f64 v[2:3], v[68:69], v[64:65]
	v_mul_f64 v[6:7], v[66:67], v[64:65]
	v_fma_f64 v[64:65], v[66:67], v[62:63], -v[2:3]
	v_add_co_u32 v2, s0, 0xa000, v4
	s_delay_alu instid0(VALU_DEP_1) | instskip(NEXT) | instid1(VALU_DEP_4)
	v_add_co_ci_u32_e64 v3, s0, 0, v5, s0
	v_fma_f64 v[66:67], v[68:69], v[62:63], v[6:7]
	s_clause 0x1
	global_load_b128 v[68:71], v[2:3], off offset:3040
	global_load_b128 v[220:223], v[2:3], off offset:2160
	s_waitcnt vmcnt(1)
	v_mul_f64 v[6:7], v[74:75], v[70:71]
	v_mul_f64 v[8:9], v[72:73], v[70:71]
	s_delay_alu instid0(VALU_DEP_2) | instskip(NEXT) | instid1(VALU_DEP_2)
	v_fma_f64 v[70:71], v[72:73], v[68:69], -v[6:7]
	v_fma_f64 v[72:73], v[74:75], v[68:69], v[8:9]
	v_add_co_u32 v8, s0, 0xb000, v4
	s_delay_alu instid0(VALU_DEP_1) | instskip(SKIP_4) | instid1(VALU_DEP_2)
	v_add_co_ci_u32_e64 v9, s0, 0, v5, s0
	global_load_b128 v[74:77], v[8:9], off offset:3344
	s_waitcnt vmcnt(0)
	v_mul_f64 v[6:7], v[80:81], v[76:77]
	v_mul_f64 v[10:11], v[78:79], v[76:77]
	v_fma_f64 v[76:77], v[78:79], v[74:75], -v[6:7]
	s_delay_alu instid0(VALU_DEP_2) | instskip(SKIP_1) | instid1(VALU_DEP_1)
	v_fma_f64 v[78:79], v[80:81], v[74:75], v[10:11]
	v_add_co_u32 v10, s0, 0xc000, v4
	v_add_co_ci_u32_e64 v11, s0, 0, v5, s0
	s_clause 0x1
	global_load_b128 v[80:83], v[10:11], off offset:3648
	global_load_b128 v[204:207], v[10:11], off offset:1888
	s_waitcnt vmcnt(1)
	v_mul_f64 v[6:7], v[86:87], v[82:83]
	v_mul_f64 v[52:53], v[84:85], v[82:83]
	s_delay_alu instid0(VALU_DEP_2) | instskip(NEXT) | instid1(VALU_DEP_2)
	v_fma_f64 v[82:83], v[84:85], v[80:81], -v[6:7]
	v_fma_f64 v[84:85], v[86:87], v[80:81], v[52:53]
	v_add_co_u32 v52, s0, 0xd000, v4
	s_delay_alu instid0(VALU_DEP_1) | instskip(SKIP_4) | instid1(VALU_DEP_2)
	v_add_co_ci_u32_e64 v53, s0, 0, v5, s0
	global_load_b128 v[86:89], v[52:53], off offset:3952
	s_waitcnt vmcnt(0)
	v_mul_f64 v[6:7], v[92:93], v[88:89]
	v_mul_f64 v[58:59], v[90:91], v[88:89]
	v_fma_f64 v[88:89], v[90:91], v[86:87], -v[6:7]
	v_add_co_u32 v6, s0, 0x7850, v4
	s_delay_alu instid0(VALU_DEP_1) | instskip(NEXT) | instid1(VALU_DEP_4)
	v_add_co_ci_u32_e64 v7, s0, 0, v5, s0
	v_fma_f64 v[90:91], v[92:93], v[86:87], v[58:59]
	global_load_b128 v[92:95], v[6:7], off offset:880
	s_waitcnt vmcnt(0)
	v_mul_f64 v[58:59], v[98:99], v[94:95]
	v_mul_f64 v[62:63], v[96:97], v[94:95]
	s_delay_alu instid0(VALU_DEP_2)
	v_fma_f64 v[94:95], v[96:97], v[92:93], -v[58:59]
	global_load_b128 v[58:61], v[60:61], off offset:3312
	v_fma_f64 v[96:97], v[98:99], v[92:93], v[62:63]
	ds_load_b128 v[98:101], v226 offset:5280
	s_waitcnt vmcnt(0) lgkmcnt(0)
	v_mul_f64 v[62:63], v[100:101], v[60:61]
	v_mul_f64 v[68:69], v[98:99], v[60:61]
	s_delay_alu instid0(VALU_DEP_2) | instskip(NEXT) | instid1(VALU_DEP_2)
	v_fma_f64 v[60:61], v[98:99], v[58:59], -v[62:63]
	v_fma_f64 v[62:63], v[100:101], v[58:59], v[68:69]
	global_load_b128 v[98:101], v[0:1], off offset:3616
	s_waitcnt vmcnt(0)
	v_mul_f64 v[58:59], v[104:105], v[100:101]
	v_mul_f64 v[68:69], v[102:103], v[100:101]
	s_delay_alu instid0(VALU_DEP_2) | instskip(NEXT) | instid1(VALU_DEP_2)
	v_fma_f64 v[100:101], v[102:103], v[98:99], -v[58:59]
	v_fma_f64 v[102:103], v[104:105], v[98:99], v[68:69]
	global_load_b128 v[104:107], v[2:3], off offset:3920
	s_waitcnt vmcnt(0)
	;; [unrolled: 7-line block ×4, first 2 shown]
	v_mul_f64 v[58:59], v[122:123], v[118:119]
	v_mul_f64 v[68:69], v[120:121], v[118:119]
	s_delay_alu instid0(VALU_DEP_2) | instskip(SKIP_1) | instid1(VALU_DEP_1)
	v_fma_f64 v[118:119], v[120:121], v[116:117], -v[58:59]
	v_add_co_u32 v58, s0, 0xe000, v4
	v_add_co_ci_u32_e64 v59, s0, 0, v5, s0
	s_delay_alu instid0(VALU_DEP_4)
	v_fma_f64 v[120:121], v[122:123], v[116:117], v[68:69]
	s_mov_b32 s0, 0x36b3c0b5
	s_mov_b32 s1, 0x3fac98ee
	global_load_b128 v[122:125], v[58:59], off offset:736
	s_waitcnt vmcnt(0)
	v_mul_f64 v[4:5], v[128:129], v[124:125]
	v_mul_f64 v[68:69], v[126:127], v[124:125]
	s_delay_alu instid0(VALU_DEP_2) | instskip(NEXT) | instid1(VALU_DEP_2)
	v_fma_f64 v[124:125], v[126:127], v[122:123], -v[4:5]
	v_fma_f64 v[126:127], v[128:129], v[122:123], v[68:69]
	global_load_b128 v[128:131], v[6:7], off offset:1760
	s_waitcnt vmcnt(0)
	v_mul_f64 v[4:5], v[134:135], v[130:131]
	v_mul_f64 v[68:69], v[132:133], v[130:131]
	s_delay_alu instid0(VALU_DEP_2) | instskip(NEXT) | instid1(VALU_DEP_2)
	v_fma_f64 v[130:131], v[132:133], v[128:129], -v[4:5]
	v_fma_f64 v[132:133], v[134:135], v[128:129], v[68:69]
	;; [unrolled: 7-line block ×12, first 2 shown]
	v_mul_f64 v[4:5], v[242:243], v[206:207]
	v_mul_f64 v[68:69], v[240:241], v[206:207]
	ds_load_b128 v[194:197], v226 offset:16720
	v_fma_f64 v[240:241], v[240:241], v[204:205], -v[4:5]
	v_fma_f64 v[242:243], v[242:243], v[204:205], v[68:69]
	global_load_b128 v[204:207], v[52:53], off offset:2192
	s_waitcnt vmcnt(0)
	v_mul_f64 v[4:5], v[246:247], v[206:207]
	v_mul_f64 v[68:69], v[244:245], v[206:207]
	s_delay_alu instid0(VALU_DEP_2) | instskip(NEXT) | instid1(VALU_DEP_2)
	v_fma_f64 v[244:245], v[244:245], v[204:205], -v[4:5]
	v_fma_f64 v[246:247], v[246:247], v[204:205], v[68:69]
	global_load_b128 v[204:207], v[58:59], off offset:2496
	s_waitcnt vmcnt(0)
	v_mul_f64 v[4:5], v[250:251], v[206:207]
	v_mul_f64 v[68:69], v[248:249], v[206:207]
	s_delay_alu instid0(VALU_DEP_2) | instskip(NEXT) | instid1(VALU_DEP_2)
	v_fma_f64 v[248:249], v[248:249], v[204:205], -v[4:5]
	v_fma_f64 v[250:251], v[250:251], v[204:205], v[68:69]
	global_load_b128 v[204:207], v[6:7], off offset:3520
	ds_load_b128 v[4:7], v226 offset:3520
	s_waitcnt vmcnt(0) lgkmcnt(0)
	v_mul_f64 v[68:69], v[6:7], v[206:207]
	v_mul_f64 v[74:75], v[4:5], v[206:207]
	s_delay_alu instid0(VALU_DEP_2) | instskip(NEXT) | instid1(VALU_DEP_2)
	v_fma_f64 v[4:5], v[4:5], v[204:205], -v[68:69]
	v_fma_f64 v[6:7], v[6:7], v[204:205], v[74:75]
	global_load_b128 v[204:207], v[0:1], off offset:1856
	s_waitcnt vmcnt(0)
	v_mul_f64 v[0:1], v[210:211], v[206:207]
	v_mul_f64 v[68:69], v[208:209], v[206:207]
	s_delay_alu instid0(VALU_DEP_2)
	v_fma_f64 v[206:207], v[208:209], v[204:205], -v[0:1]
	ds_load_b128 v[0:3], v226 offset:12320
	v_fma_f64 v[208:209], v[210:211], v[204:205], v[68:69]
	global_load_b128 v[202:205], v[52:53], off offset:3072
	ds_load_b128 v[210:213], v226 offset:29920
	s_waitcnt lgkmcnt(1)
	v_mul_f64 v[68:69], v[2:3], v[222:223]
	v_mul_f64 v[74:75], v[0:1], v[222:223]
	s_delay_alu instid0(VALU_DEP_2) | instskip(NEXT) | instid1(VALU_DEP_2)
	v_fma_f64 v[0:1], v[0:1], v[220:221], -v[68:69]
	v_fma_f64 v[2:3], v[2:3], v[220:221], v[74:75]
	global_load_b128 v[220:223], v[8:9], off offset:2464
	s_waitcnt vmcnt(0)
	v_mul_f64 v[8:9], v[196:197], v[222:223]
	v_mul_f64 v[68:69], v[194:195], v[222:223]
	s_delay_alu instid0(VALU_DEP_2) | instskip(NEXT) | instid1(VALU_DEP_2)
	v_fma_f64 v[194:195], v[194:195], v[220:221], -v[8:9]
	v_fma_f64 v[196:197], v[196:197], v[220:221], v[68:69]
	global_load_b128 v[220:223], v[10:11], off offset:2768
	s_waitcnt vmcnt(0)
	v_mul_f64 v[8:9], v[200:201], v[222:223]
	v_mul_f64 v[10:11], v[198:199], v[222:223]
	s_delay_alu instid0(VALU_DEP_2) | instskip(NEXT) | instid1(VALU_DEP_2)
	v_fma_f64 v[198:199], v[198:199], v[220:221], -v[8:9]
	v_fma_f64 v[200:201], v[200:201], v[220:221], v[10:11]
	ds_load_b128 v[220:223], v226 offset:25520
	s_waitcnt lgkmcnt(0)
	v_mul_f64 v[8:9], v[222:223], v[204:205]
	v_mul_f64 v[10:11], v[220:221], v[204:205]
	s_delay_alu instid0(VALU_DEP_2) | instskip(NEXT) | instid1(VALU_DEP_2)
	v_fma_f64 v[220:221], v[220:221], v[202:203], -v[8:9]
	v_fma_f64 v[222:223], v[222:223], v[202:203], v[10:11]
	global_load_b128 v[202:205], v[58:59], off offset:3376
	s_waitcnt vmcnt(0)
	v_mul_f64 v[8:9], v[212:213], v[204:205]
	v_mul_f64 v[10:11], v[210:211], v[204:205]
	s_delay_alu instid0(VALU_DEP_2) | instskip(NEXT) | instid1(VALU_DEP_2)
	v_fma_f64 v[210:211], v[210:211], v[202:203], -v[8:9]
	v_fma_f64 v[212:213], v[212:213], v[202:203], v[10:11]
	ds_store_b128 v226, v[48:51]
	ds_store_b128 v226, v[94:97] offset:880
	ds_store_b128 v226, v[64:67] offset:8800
	;; [unrolled: 1-line block ×34, first 2 shown]
	s_waitcnt lgkmcnt(0)
	s_barrier
	buffer_gl0_inv
	ds_load_b128 v[0:3], v226 offset:4400
	ds_load_b128 v[4:7], v226 offset:26400
	s_waitcnt lgkmcnt(0)
	v_add_f64 v[114:115], v[0:1], v[4:5]
	v_add_f64 v[116:117], v[2:3], v[6:7]
	v_add_f64 v[118:119], v[0:1], -v[4:5]
	v_add_f64 v[120:121], v[2:3], -v[6:7]
	ds_load_b128 v[0:3], v226 offset:22000
	ds_load_b128 v[4:7], v226 offset:8800
	s_waitcnt lgkmcnt(0)
	v_add_f64 v[166:167], v[4:5], v[0:1]
	v_add_f64 v[164:165], v[6:7], v[2:3]
	v_add_f64 v[162:163], v[4:5], -v[0:1]
	v_add_f64 v[160:161], v[6:7], -v[2:3]
	;; [unrolled: 7-line block ×3, first 2 shown]
	ds_load_b128 v[0:3], v226 offset:27280
	ds_load_b128 v[4:7], v226 offset:5280
	v_add_f64 v[8:9], v[166:167], -v[114:115]
	v_add_f64 v[172:173], v[162:163], -v[118:119]
	;; [unrolled: 1-line block ×3, first 2 shown]
	s_waitcnt lgkmcnt(0)
	v_add_f64 v[48:49], v[4:5], v[0:1]
	v_add_f64 v[50:51], v[6:7], v[2:3]
	v_add_f64 v[52:53], v[4:5], -v[0:1]
	v_add_f64 v[54:55], v[6:7], -v[2:3]
	ds_load_b128 v[0:3], v226 offset:9680
	ds_load_b128 v[4:7], v226 offset:22880
	v_add_f64 v[10:11], v[140:141], -v[166:167]
	v_add_f64 v[168:169], v[144:145], v[162:163]
	v_add_f64 v[170:171], v[144:145], -v[162:163]
	v_add_f64 v[162:163], v[146:147], v[160:161]
	v_add_f64 v[174:175], v[146:147], -v[160:161]
	s_waitcnt lgkmcnt(0)
	v_add_f64 v[94:95], v[0:1], v[4:5]
	v_add_f64 v[92:93], v[2:3], v[6:7]
	v_add_f64 v[72:73], v[0:1], -v[4:5]
	v_add_f64 v[90:91], v[2:3], -v[6:7]
	ds_load_b128 v[0:3], v226 offset:18480
	ds_load_b128 v[4:7], v226 offset:14080
	s_waitcnt lgkmcnt(0)
	v_add_f64 v[56:57], v[4:5], v[0:1]
	v_add_f64 v[58:59], v[6:7], v[2:3]
	v_add_f64 v[60:61], v[0:1], -v[4:5]
	v_add_f64 v[62:63], v[2:3], -v[6:7]
	ds_load_b128 v[0:3], v226 offset:6160
	ds_load_b128 v[4:7], v226 offset:28160
	v_add_f64 v[168:169], v[168:169], v[118:119]
	v_mul_f64 v[170:171], v[170:171], s[12:13]
	v_add_f64 v[178:179], v[162:163], v[120:121]
	v_mul_f64 v[174:175], v[174:175], s[12:13]
	s_waitcnt lgkmcnt(0)
	v_add_f64 v[64:65], v[0:1], v[4:5]
	v_add_f64 v[66:67], v[2:3], v[6:7]
	v_add_f64 v[68:69], v[0:1], -v[4:5]
	v_add_f64 v[70:71], v[2:3], -v[6:7]
	ds_load_b128 v[0:3], v226 offset:23760
	ds_load_b128 v[4:7], v226 offset:10560
	v_fma_f64 v[160:161], v[172:173], s[10:11], -v[170:171]
	s_waitcnt lgkmcnt(0)
	v_add_f64 v[126:127], v[4:5], v[0:1]
	v_add_f64 v[124:125], v[6:7], v[2:3]
	v_add_f64 v[96:97], v[4:5], -v[0:1]
	v_add_f64 v[122:123], v[6:7], -v[2:3]
	ds_load_b128 v[0:3], v226 offset:14960
	ds_load_b128 v[4:7], v226 offset:19360
	s_waitcnt lgkmcnt(0)
	v_add_f64 v[74:75], v[0:1], v[4:5]
	v_add_f64 v[76:77], v[2:3], v[6:7]
	v_add_f64 v[78:79], v[4:5], -v[0:1]
	v_add_f64 v[80:81], v[6:7], -v[2:3]
	ds_load_b128 v[0:3], v226 offset:29040
	ds_load_b128 v[4:7], v226 offset:7040
	v_fma_f64 v[162:163], v[168:169], s[8:9], v[160:161]
	v_fma_f64 v[160:161], v[176:177], s[10:11], -v[174:175]
	s_waitcnt lgkmcnt(0)
	v_add_f64 v[82:83], v[4:5], v[0:1]
	v_add_f64 v[84:85], v[6:7], v[2:3]
	v_add_f64 v[86:87], v[4:5], -v[0:1]
	v_add_f64 v[88:89], v[6:7], -v[2:3]
	ds_load_b128 v[0:3], v226 offset:11440
	ds_load_b128 v[4:7], v226 offset:24640
	s_waitcnt lgkmcnt(0)
	v_add_f64 v[152:153], v[0:1], v[4:5]
	v_add_f64 v[148:149], v[2:3], v[6:7]
	v_add_f64 v[128:129], v[0:1], -v[4:5]
	v_add_f64 v[138:139], v[2:3], -v[6:7]
	ds_load_b128 v[0:3], v226 offset:20240
	ds_load_b128 v[4:7], v226 offset:15840
	v_fma_f64 v[160:161], v[178:179], s[8:9], v[160:161]
	s_waitcnt lgkmcnt(0)
	v_add_f64 v[106:107], v[4:5], v[0:1]
	v_add_f64 v[108:109], v[6:7], v[2:3]
	v_add_f64 v[110:111], v[0:1], -v[4:5]
	v_add_f64 v[112:113], v[2:3], -v[6:7]
	ds_load_b128 v[0:3], v226 offset:7920
	ds_load_b128 v[4:7], v226 offset:29920
	s_waitcnt lgkmcnt(0)
	v_add_f64 v[98:99], v[0:1], v[4:5]
	v_add_f64 v[100:101], v[2:3], v[6:7]
	v_add_f64 v[102:103], v[0:1], -v[4:5]
	v_add_f64 v[104:105], v[2:3], -v[6:7]
	ds_load_b128 v[0:3], v226 offset:12320
	ds_load_b128 v[4:7], v226 offset:25520
	;; [unrolled: 7-line block ×3, first 2 shown]
	s_waitcnt lgkmcnt(0)
	v_add_f64 v[130:131], v[4:5], v[0:1]
	v_add_f64 v[134:135], v[0:1], -v[4:5]
	v_add_f64 v[0:1], v[166:167], v[114:115]
	v_add_f64 v[132:133], v[6:7], v[2:3]
	v_add_f64 v[136:137], v[2:3], -v[6:7]
	v_add_f64 v[114:115], v[114:115], -v[140:141]
	;; [unrolled: 1-line block ×3, first 2 shown]
	v_add_f64 v[4:5], v[140:141], v[0:1]
	v_add_f64 v[0:1], v[164:165], v[116:117]
	v_add_f64 v[164:165], v[142:143], -v[164:165]
	v_add_f64 v[116:117], v[116:117], -v[142:143]
	;; [unrolled: 1-line block ×3, first 2 shown]
	v_mul_f64 v[144:145], v[114:115], s[16:17]
	v_mul_f64 v[118:119], v[172:173], s[10:11]
	v_add_f64 v[6:7], v[142:143], v[0:1]
	ds_load_b128 v[0:3], v226
	v_add_f64 v[142:143], v[120:121], -v[146:147]
	v_mul_f64 v[120:121], v[176:177], s[10:11]
	v_mul_f64 v[146:147], v[116:117], s[16:17]
	v_fma_f64 v[114:115], v[140:141], s[20:21], -v[118:119]
	s_waitcnt lgkmcnt(0)
	v_add_f64 v[0:1], v[0:1], v[4:5]
	v_add_f64 v[2:3], v[2:3], v[6:7]
	v_fma_f64 v[116:117], v[142:143], s[20:21], -v[120:121]
	v_fma_f64 v[118:119], v[166:167], s[18:19], -v[146:147]
	v_fma_f64 v[120:121], v[168:169], s[8:9], v[114:115]
	v_fma_f64 v[180:181], v[4:5], s[22:23], v[0:1]
	v_mul_f64 v[4:5], v[10:11], s[0:1]
	v_fma_f64 v[10:11], v[10:11], s[0:1], v[144:145]
	v_fma_f64 v[182:183], v[6:7], s[22:23], v[2:3]
	v_mul_f64 v[6:7], v[164:165], s[0:1]
	s_delay_alu instid0(VALU_DEP_4)
	v_fma_f64 v[4:5], v[8:9], s[24:25], -v[4:5]
	v_fma_f64 v[8:9], v[8:9], s[18:19], -v[144:145]
	v_add_f64 v[10:11], v[10:11], v[180:181]
	v_add_f64 v[172:173], v[118:119], v[182:183]
	v_fma_f64 v[6:7], v[166:167], s[24:25], -v[6:7]
	v_fma_f64 v[166:167], v[178:179], s[8:9], v[116:117]
	v_add_f64 v[184:185], v[4:5], v[180:181]
	v_add_f64 v[8:9], v[8:9], v[180:181]
	v_add_f64 v[116:117], v[172:173], -v[120:121]
	v_add_f64 v[120:121], v[120:121], v[172:173]
	v_add_f64 v[186:187], v[6:7], v[182:183]
	v_add_f64 v[4:5], v[184:185], -v[160:161]
	v_add_f64 v[114:115], v[8:9], v[166:167]
	v_add_f64 v[118:119], v[8:9], -v[166:167]
	v_fma_f64 v[8:9], v[140:141], s[14:15], v[170:171]
	v_fma_f64 v[140:141], v[142:143], s[14:15], v[174:175]
	;; [unrolled: 1-line block ×3, first 2 shown]
	v_add_f64 v[160:161], v[184:185], v[160:161]
	v_add_f64 v[6:7], v[162:163], v[186:187]
	v_add_f64 v[162:163], v[186:187], -v[162:163]
	v_fma_f64 v[8:9], v[168:169], s[8:9], v[8:9]
	v_fma_f64 v[144:145], v[178:179], s[8:9], v[140:141]
	v_add_f64 v[146:147], v[142:143], v[182:183]
	ds_load_b128 v[164:167], v226 offset:3520
	ds_load_b128 v[168:171], v226 offset:880
	;; [unrolled: 1-line block ×4, first 2 shown]
	s_waitcnt lgkmcnt(0)
	s_barrier
	buffer_gl0_inv
	v_add_f64 v[140:141], v[10:11], v[144:145]
	v_add_f64 v[142:143], v[146:147], -v[8:9]
	v_add_f64 v[146:147], v[8:9], v[146:147]
	scratch_load_b32 v8, off, off offset:1440 ; 4-byte Folded Reload
	v_add_f64 v[144:145], v[10:11], -v[144:145]
	s_waitcnt vmcnt(0)
	ds_store_b128 v8, v[0:3]
	ds_store_b128 v8, v[140:143] offset:16
	ds_store_b128 v8, v[114:117] offset:32
	;; [unrolled: 1-line block ×6, first 2 shown]
	v_add_f64 v[0:1], v[94:95], v[48:49]
	v_add_f64 v[8:9], v[94:95], -v[48:49]
	v_add_f64 v[10:11], v[56:57], -v[94:95]
	;; [unrolled: 1-line block ×6, first 2 shown]
	v_add_f64 v[116:117], v[62:63], v[90:91]
	v_add_f64 v[4:5], v[56:57], v[0:1]
	;; [unrolled: 1-line block ×3, first 2 shown]
	v_add_f64 v[50:51], v[50:51], -v[58:59]
	v_add_f64 v[92:93], v[62:63], -v[90:91]
	v_mul_f64 v[90:91], v[10:11], s[0:1]
	v_add_f64 v[56:57], v[52:53], -v[60:61]
	v_add_f64 v[116:117], v[116:117], v[54:55]
	v_add_f64 v[6:7], v[58:59], v[0:1]
	;; [unrolled: 1-line block ×3, first 2 shown]
	v_add_f64 v[58:59], v[54:55], -v[62:63]
	v_mul_f64 v[62:63], v[50:51], s[16:17]
	v_fma_f64 v[90:91], v[8:9], s[24:25], -v[90:91]
	v_mul_f64 v[120:121], v[92:93], s[12:13]
	v_mul_f64 v[92:93], v[114:115], s[0:1]
	v_add_f64 v[2:3], v[170:171], v[6:7]
	v_fma_f64 v[140:141], v[4:5], s[22:23], v[0:1]
	v_add_f64 v[4:5], v[60:61], v[72:73]
	s_delay_alu instid0(VALU_DEP_4) | instskip(NEXT) | instid1(VALU_DEP_4)
	v_fma_f64 v[92:93], v[94:95], s[24:25], -v[92:93]
	v_fma_f64 v[142:143], v[6:7], s[22:23], v[2:3]
	v_add_f64 v[6:7], v[60:61], -v[72:73]
	v_mul_f64 v[60:61], v[48:49], s[16:17]
	v_mul_f64 v[48:49], v[118:119], s[10:11]
	v_add_f64 v[72:73], v[72:73], -v[52:53]
	v_add_f64 v[144:145], v[4:5], v[52:53]
	v_fma_f64 v[52:53], v[94:95], s[18:19], -v[62:63]
	v_fma_f64 v[4:5], v[118:119], s[10:11], -v[120:121]
	v_add_f64 v[90:91], v[90:91], v[140:141]
	v_add_f64 v[92:93], v[92:93], v[142:143]
	v_mul_f64 v[146:147], v[6:7], s[12:13]
	v_fma_f64 v[8:9], v[8:9], s[18:19], -v[60:61]
	v_fma_f64 v[48:49], v[58:59], s[20:21], -v[48:49]
	v_mul_f64 v[50:51], v[72:73], s[10:11]
	v_fma_f64 v[58:59], v[58:59], s[14:15], v[120:121]
	v_add_f64 v[54:55], v[52:53], v[142:143]
	v_fma_f64 v[160:161], v[116:117], s[8:9], v[4:5]
	v_fma_f64 v[4:5], v[72:73], s[10:11], -v[146:147]
	v_add_f64 v[8:9], v[8:9], v[140:141]
	v_fma_f64 v[52:53], v[116:117], s[8:9], v[48:49]
	v_fma_f64 v[50:51], v[56:57], s[20:21], -v[50:51]
	v_fma_f64 v[56:57], v[56:57], s[14:15], v[146:147]
	v_fma_f64 v[162:163], v[144:145], s[8:9], v[4:5]
	v_add_f64 v[4:5], v[90:91], -v[160:161]
	v_add_f64 v[48:49], v[8:9], v[52:53]
	v_add_f64 v[52:53], v[8:9], -v[52:53]
	v_fma_f64 v[8:9], v[10:11], s[0:1], v[60:61]
	v_fma_f64 v[60:61], v[116:117], s[8:9], v[58:59]
	;; [unrolled: 1-line block ×5, first 2 shown]
	v_add_f64 v[90:91], v[90:91], v[160:161]
	v_add_f64 v[6:7], v[162:163], v[92:93]
	v_add_f64 v[92:93], v[92:93], -v[162:163]
	v_add_f64 v[8:9], v[8:9], v[140:141]
	v_add_f64 v[10:11], v[10:11], v[142:143]
	v_add_f64 v[50:51], v[54:55], -v[72:73]
	v_add_f64 v[54:55], v[72:73], v[54:55]
	s_delay_alu instid0(VALU_DEP_4)
	v_add_f64 v[56:57], v[8:9], v[60:61]
	v_add_f64 v[60:61], v[8:9], -v[60:61]
	scratch_load_b32 v8, off, off offset:1352 ; 4-byte Folded Reload
	v_add_f64 v[58:59], v[10:11], -v[62:63]
	v_add_f64 v[62:63], v[62:63], v[10:11]
	s_waitcnt vmcnt(0)
	ds_store_b128 v8, v[0:3]
	ds_store_b128 v8, v[56:59] offset:16
	ds_store_b128 v8, v[48:51] offset:32
	;; [unrolled: 1-line block ×6, first 2 shown]
	v_add_f64 v[0:1], v[126:127], v[64:65]
	v_add_f64 v[10:11], v[74:75], -v[126:127]
	v_add_f64 v[8:9], v[126:127], -v[64:65]
	;; [unrolled: 1-line block ×3, first 2 shown]
	v_add_f64 v[50:51], v[80:81], v[122:123]
	v_add_f64 v[54:55], v[122:123], -v[70:71]
	v_add_f64 v[56:57], v[78:79], -v[96:97]
	;; [unrolled: 1-line block ×5, first 2 shown]
	v_add_f64 v[4:5], v[74:75], v[0:1]
	v_add_f64 v[0:1], v[124:125], v[66:67]
	v_mul_f64 v[62:63], v[48:49], s[12:13]
	v_add_f64 v[48:49], v[78:79], v[96:97]
	v_add_f64 v[94:95], v[50:51], v[70:71]
	v_mul_f64 v[96:97], v[56:57], s[12:13]
	v_add_f64 v[6:7], v[76:77], v[0:1]
	v_add_f64 v[0:1], v[172:173], v[4:5]
	;; [unrolled: 1-line block ×3, first 2 shown]
	s_delay_alu instid0(VALU_DEP_3) | instskip(NEXT) | instid1(VALU_DEP_3)
	v_add_f64 v[2:3], v[174:175], v[6:7]
	v_fma_f64 v[72:73], v[4:5], s[22:23], v[0:1]
	v_mul_f64 v[4:5], v[10:11], s[0:1]
	s_delay_alu instid0(VALU_DEP_3) | instskip(SKIP_1) | instid1(VALU_DEP_3)
	v_fma_f64 v[90:91], v[6:7], s[22:23], v[2:3]
	v_mul_f64 v[6:7], v[60:61], s[0:1]
	v_fma_f64 v[4:5], v[8:9], s[24:25], -v[4:5]
	s_delay_alu instid0(VALU_DEP_2) | instskip(NEXT) | instid1(VALU_DEP_2)
	v_fma_f64 v[6:7], v[52:53], s[24:25], -v[6:7]
	v_add_f64 v[48:49], v[4:5], v[72:73]
	v_fma_f64 v[4:5], v[54:55], s[10:11], -v[62:63]
	v_mul_f64 v[54:55], v[54:55], s[10:11]
	s_delay_alu instid0(VALU_DEP_4) | instskip(NEXT) | instid1(VALU_DEP_3)
	v_add_f64 v[50:51], v[6:7], v[90:91]
	v_fma_f64 v[56:57], v[94:95], s[8:9], v[4:5]
	v_fma_f64 v[4:5], v[58:59], s[10:11], -v[96:97]
	s_delay_alu instid0(VALU_DEP_1) | instskip(NEXT) | instid1(VALU_DEP_3)
	v_fma_f64 v[114:115], v[92:93], s[8:9], v[4:5]
	v_add_f64 v[4:5], v[48:49], -v[56:57]
	v_add_f64 v[48:49], v[48:49], v[56:57]
	v_add_f64 v[56:57], v[64:65], -v[74:75]
	v_add_f64 v[64:65], v[66:67], -v[76:77]
	;; [unrolled: 1-line block ×5, first 2 shown]
	v_add_f64 v[6:7], v[114:115], v[50:51]
	v_add_f64 v[50:51], v[50:51], -v[114:115]
	v_mul_f64 v[70:71], v[56:57], s[16:17]
	v_mul_f64 v[64:65], v[64:65], s[16:17]
	v_mul_f64 v[56:57], v[58:59], s[10:11]
	v_fma_f64 v[54:55], v[68:69], s[20:21], -v[54:55]
	s_delay_alu instid0(VALU_DEP_4) | instskip(NEXT) | instid1(VALU_DEP_4)
	v_fma_f64 v[8:9], v[8:9], s[18:19], -v[70:71]
	v_fma_f64 v[52:53], v[52:53], s[18:19], -v[64:65]
	s_delay_alu instid0(VALU_DEP_4) | instskip(NEXT) | instid1(VALU_DEP_4)
	v_fma_f64 v[56:57], v[66:67], s[20:21], -v[56:57]
	v_fma_f64 v[74:75], v[94:95], s[8:9], v[54:55]
	s_delay_alu instid0(VALU_DEP_4) | instskip(NEXT) | instid1(VALU_DEP_4)
	v_add_f64 v[8:9], v[8:9], v[72:73]
	v_add_f64 v[58:59], v[52:53], v[90:91]
	s_delay_alu instid0(VALU_DEP_4) | instskip(NEXT) | instid1(VALU_DEP_3)
	v_fma_f64 v[76:77], v[92:93], s[8:9], v[56:57]
	v_add_f64 v[52:53], v[8:9], v[74:75]
	v_add_f64 v[56:57], v[8:9], -v[74:75]
	v_fma_f64 v[8:9], v[10:11], s[0:1], v[70:71]
	v_fma_f64 v[10:11], v[60:61], s[0:1], v[64:65]
	;; [unrolled: 1-line block ×4, first 2 shown]
	v_add_f64 v[54:55], v[58:59], -v[76:77]
	v_add_f64 v[58:59], v[76:77], v[58:59]
	v_add_f64 v[76:77], v[86:87], -v[110:111]
	v_add_f64 v[8:9], v[8:9], v[72:73]
	v_add_f64 v[10:11], v[10:11], v[90:91]
	v_fma_f64 v[64:65], v[94:95], s[8:9], v[60:61]
	v_fma_f64 v[66:67], v[92:93], s[8:9], v[62:63]
	s_delay_alu instid0(VALU_DEP_2)
	v_add_f64 v[60:61], v[8:9], v[64:65]
	v_add_f64 v[64:65], v[8:9], -v[64:65]
	scratch_load_b32 v8, off, off offset:1276 ; 4-byte Folded Reload
	v_add_f64 v[62:63], v[10:11], -v[66:67]
	v_add_f64 v[66:67], v[66:67], v[10:11]
	s_waitcnt vmcnt(0)
	ds_store_b128 v8, v[0:3]
	ds_store_b128 v8, v[60:63] offset:16
	ds_store_b128 v8, v[52:55] offset:32
	;; [unrolled: 1-line block ×6, first 2 shown]
	v_add_f64 v[0:1], v[152:153], v[82:83]
	v_add_f64 v[10:11], v[106:107], -v[152:153]
	v_add_f64 v[8:9], v[152:153], -v[82:83]
	;; [unrolled: 1-line block ×4, first 2 shown]
	v_add_f64 v[50:51], v[112:113], v[138:139]
	v_add_f64 v[54:55], v[138:139], -v[88:89]
	v_add_f64 v[56:57], v[110:111], -v[128:129]
	;; [unrolled: 1-line block ×4, first 2 shown]
	v_add_f64 v[4:5], v[106:107], v[0:1]
	v_add_f64 v[0:1], v[148:149], v[84:85]
	v_mul_f64 v[62:63], v[48:49], s[12:13]
	v_add_f64 v[48:49], v[110:111], v[128:129]
	v_add_f64 v[70:71], v[50:51], v[88:89]
	v_mul_f64 v[72:73], v[56:57], s[12:13]
	v_add_f64 v[6:7], v[108:109], v[0:1]
	v_add_f64 v[0:1], v[176:177], v[4:5]
	;; [unrolled: 1-line block ×3, first 2 shown]
	s_delay_alu instid0(VALU_DEP_3) | instskip(NEXT) | instid1(VALU_DEP_3)
	v_add_f64 v[2:3], v[178:179], v[6:7]
	v_fma_f64 v[64:65], v[4:5], s[22:23], v[0:1]
	v_mul_f64 v[4:5], v[10:11], s[0:1]
	s_delay_alu instid0(VALU_DEP_3) | instskip(SKIP_1) | instid1(VALU_DEP_3)
	v_fma_f64 v[66:67], v[6:7], s[22:23], v[2:3]
	v_mul_f64 v[6:7], v[60:61], s[0:1]
	v_fma_f64 v[4:5], v[8:9], s[24:25], -v[4:5]
	s_delay_alu instid0(VALU_DEP_2) | instskip(NEXT) | instid1(VALU_DEP_2)
	v_fma_f64 v[6:7], v[52:53], s[24:25], -v[6:7]
	v_add_f64 v[48:49], v[4:5], v[64:65]
	v_fma_f64 v[4:5], v[54:55], s[10:11], -v[62:63]
	v_mul_f64 v[54:55], v[54:55], s[10:11]
	s_delay_alu instid0(VALU_DEP_4) | instskip(NEXT) | instid1(VALU_DEP_3)
	v_add_f64 v[50:51], v[6:7], v[66:67]
	v_fma_f64 v[56:57], v[70:71], s[8:9], v[4:5]
	v_fma_f64 v[4:5], v[58:59], s[10:11], -v[72:73]
	s_delay_alu instid0(VALU_DEP_4) | instskip(NEXT) | instid1(VALU_DEP_2)
	v_fma_f64 v[54:55], v[78:79], s[20:21], -v[54:55]
	v_fma_f64 v[74:75], v[68:69], s[8:9], v[4:5]
	s_delay_alu instid0(VALU_DEP_4)
	v_add_f64 v[4:5], v[48:49], -v[56:57]
	v_add_f64 v[48:49], v[48:49], v[56:57]
	v_add_f64 v[56:57], v[82:83], -v[106:107]
	v_fma_f64 v[82:83], v[70:71], s[8:9], v[54:55]
	v_add_f64 v[6:7], v[74:75], v[50:51]
	v_add_f64 v[50:51], v[50:51], -v[74:75]
	v_add_f64 v[74:75], v[84:85], -v[108:109]
	v_mul_f64 v[80:81], v[56:57], s[16:17]
	v_mul_f64 v[56:57], v[58:59], s[10:11]
	s_delay_alu instid0(VALU_DEP_3) | instskip(NEXT) | instid1(VALU_DEP_3)
	v_mul_f64 v[74:75], v[74:75], s[16:17]
	v_fma_f64 v[8:9], v[8:9], s[18:19], -v[80:81]
	s_delay_alu instid0(VALU_DEP_3) | instskip(NEXT) | instid1(VALU_DEP_3)
	v_fma_f64 v[56:57], v[76:77], s[20:21], -v[56:57]
	v_fma_f64 v[52:53], v[52:53], s[18:19], -v[74:75]
	s_delay_alu instid0(VALU_DEP_3) | instskip(NEXT) | instid1(VALU_DEP_3)
	v_add_f64 v[8:9], v[8:9], v[64:65]
	v_fma_f64 v[84:85], v[68:69], s[8:9], v[56:57]
	s_delay_alu instid0(VALU_DEP_3) | instskip(NEXT) | instid1(VALU_DEP_3)
	v_add_f64 v[58:59], v[52:53], v[66:67]
	v_add_f64 v[52:53], v[8:9], v[82:83]
	v_add_f64 v[56:57], v[8:9], -v[82:83]
	v_fma_f64 v[8:9], v[10:11], s[0:1], v[80:81]
	v_fma_f64 v[10:11], v[60:61], s[0:1], v[74:75]
	;; [unrolled: 1-line block ×4, first 2 shown]
	v_add_f64 v[78:79], v[104:105], -v[136:137]
	v_add_f64 v[76:77], v[102:103], -v[134:135]
	;; [unrolled: 1-line block ×3, first 2 shown]
	v_add_f64 v[58:59], v[84:85], v[58:59]
	v_add_f64 v[8:9], v[8:9], v[64:65]
	;; [unrolled: 1-line block ×3, first 2 shown]
	v_fma_f64 v[64:65], v[70:71], s[8:9], v[60:61]
	v_fma_f64 v[66:67], v[68:69], s[8:9], v[62:63]
	s_delay_alu instid0(VALU_DEP_2)
	v_add_f64 v[60:61], v[8:9], v[64:65]
	v_add_f64 v[64:65], v[8:9], -v[64:65]
	scratch_load_b32 v8, off, off offset:1256 ; 4-byte Folded Reload
	v_add_f64 v[62:63], v[10:11], -v[66:67]
	v_add_f64 v[66:67], v[66:67], v[10:11]
	s_waitcnt vmcnt(0)
	ds_store_b128 v8, v[0:3]
	ds_store_b128 v8, v[60:63] offset:16
	ds_store_b128 v8, v[52:55] offset:32
	ds_store_b128 v8, v[4:7] offset:48
	ds_store_b128 v8, v[48:51] offset:64
	ds_store_b128 v8, v[56:59] offset:80
	ds_store_b128 v8, v[64:67] offset:96
	v_add_f64 v[0:1], v[158:159], v[98:99]
	v_add_f64 v[10:11], v[130:131], -v[158:159]
	v_add_f64 v[8:9], v[158:159], -v[98:99]
	;; [unrolled: 1-line block ×4, first 2 shown]
	v_add_f64 v[54:55], v[136:137], v[154:155]
	v_add_f64 v[60:61], v[154:155], -v[104:105]
	v_add_f64 v[56:57], v[134:135], -v[150:151]
	;; [unrolled: 1-line block ×4, first 2 shown]
	v_add_f64 v[4:5], v[130:131], v[0:1]
	v_add_f64 v[0:1], v[156:157], v[100:101]
	v_mul_f64 v[64:65], v[50:51], s[12:13]
	v_add_f64 v[50:51], v[134:135], v[150:151]
	v_add_f64 v[54:55], v[54:55], v[104:105]
	v_mul_f64 v[72:73], v[56:57], s[12:13]
	v_add_f64 v[6:7], v[132:133], v[0:1]
	v_add_f64 v[0:1], v[164:165], v[4:5]
	v_add_f64 v[70:71], v[50:51], v[102:103]
	s_delay_alu instid0(VALU_DEP_3) | instskip(NEXT) | instid1(VALU_DEP_3)
	v_add_f64 v[2:3], v[166:167], v[6:7]
	v_fma_f64 v[66:67], v[4:5], s[22:23], v[0:1]
	v_mul_f64 v[4:5], v[10:11], s[0:1]
	s_delay_alu instid0(VALU_DEP_3) | instskip(SKIP_1) | instid1(VALU_DEP_3)
	v_fma_f64 v[68:69], v[6:7], s[22:23], v[2:3]
	v_mul_f64 v[6:7], v[52:53], s[0:1]
	v_fma_f64 v[4:5], v[8:9], s[24:25], -v[4:5]
	s_delay_alu instid0(VALU_DEP_2) | instskip(NEXT) | instid1(VALU_DEP_2)
	v_fma_f64 v[6:7], v[48:49], s[24:25], -v[6:7]
	v_add_f64 v[50:51], v[4:5], v[66:67]
	v_fma_f64 v[4:5], v[60:61], s[10:11], -v[64:65]
	s_delay_alu instid0(VALU_DEP_3) | instskip(NEXT) | instid1(VALU_DEP_2)
	v_add_f64 v[58:59], v[6:7], v[68:69]
	v_fma_f64 v[56:57], v[54:55], s[8:9], v[4:5]
	v_fma_f64 v[4:5], v[62:63], s[10:11], -v[72:73]
	s_delay_alu instid0(VALU_DEP_1) | instskip(NEXT) | instid1(VALU_DEP_3)
	v_fma_f64 v[74:75], v[70:71], s[8:9], v[4:5]
	v_add_f64 v[4:5], v[50:51], -v[56:57]
	v_add_f64 v[56:57], v[50:51], v[56:57]
	v_add_f64 v[50:51], v[98:99], -v[130:131]
	s_delay_alu instid0(VALU_DEP_4) | instskip(SKIP_2) | instid1(VALU_DEP_4)
	v_add_f64 v[6:7], v[74:75], v[58:59]
	v_add_f64 v[58:59], v[58:59], -v[74:75]
	v_add_f64 v[74:75], v[100:101], -v[132:133]
	v_mul_f64 v[80:81], v[50:51], s[16:17]
	v_mul_f64 v[50:51], v[60:61], s[10:11]
	;; [unrolled: 1-line block ×3, first 2 shown]
	s_delay_alu instid0(VALU_DEP_4) | instskip(NEXT) | instid1(VALU_DEP_4)
	v_mul_f64 v[74:75], v[74:75], s[16:17]
	v_fma_f64 v[8:9], v[8:9], s[18:19], -v[80:81]
	s_delay_alu instid0(VALU_DEP_4) | instskip(NEXT) | instid1(VALU_DEP_4)
	v_fma_f64 v[50:51], v[78:79], s[20:21], -v[50:51]
	v_fma_f64 v[60:61], v[76:77], s[20:21], -v[60:61]
	s_delay_alu instid0(VALU_DEP_4) | instskip(NEXT) | instid1(VALU_DEP_4)
	v_fma_f64 v[48:49], v[48:49], s[18:19], -v[74:75]
	v_add_f64 v[8:9], v[8:9], v[66:67]
	s_delay_alu instid0(VALU_DEP_2) | instskip(SKIP_2) | instid1(VALU_DEP_2)
	v_add_f64 v[82:83], v[48:49], v[68:69]
	v_fma_f64 v[48:49], v[54:55], s[8:9], v[50:51]
	v_fma_f64 v[50:51], v[70:71], s[8:9], v[60:61]
	v_add_f64 v[60:61], v[8:9], v[48:49]
	v_add_f64 v[48:49], v[8:9], -v[48:49]
	v_fma_f64 v[8:9], v[10:11], s[0:1], v[80:81]
	v_fma_f64 v[10:11], v[52:53], s[0:1], v[74:75]
	;; [unrolled: 1-line block ×4, first 2 shown]
	v_add_f64 v[62:63], v[82:83], -v[50:51]
	v_add_f64 v[50:51], v[50:51], v[82:83]
	v_add_f64 v[8:9], v[8:9], v[66:67]
	;; [unrolled: 1-line block ×3, first 2 shown]
	v_fma_f64 v[52:53], v[54:55], s[8:9], v[52:53]
	v_fma_f64 v[54:55], v[70:71], s[8:9], v[64:65]
	s_delay_alu instid0(VALU_DEP_2)
	v_add_f64 v[64:65], v[8:9], v[52:53]
	v_add_f64 v[52:53], v[8:9], -v[52:53]
	scratch_load_b32 v8, off, off offset:1180 ; 4-byte Folded Reload
	v_add_f64 v[66:67], v[10:11], -v[54:55]
	v_add_f64 v[54:55], v[54:55], v[10:11]
	s_waitcnt vmcnt(0)
	ds_store_b128 v8, v[0:3]
	ds_store_b128 v8, v[64:67] offset:16
	ds_store_b128 v8, v[60:63] offset:32
	;; [unrolled: 1-line block ×6, first 2 shown]
	s_waitcnt lgkmcnt(0)
	s_barrier
	buffer_gl0_inv
	ds_load_b128 v[64:67], v226
	ds_load_b128 v[60:63], v226 offset:880
	ds_load_b128 v[184:187], v226 offset:5600
	;; [unrolled: 1-line block ×32, first 2 shown]
	s_and_saveexec_b32 s0, vcc_lo
	s_cbranch_execz .LBB0_7
; %bb.6:
	ds_load_b128 v[48:51], v226 offset:2640
	ds_load_b128 v[52:55], v226 offset:5440
	;; [unrolled: 1-line block ×3, first 2 shown]
	s_waitcnt lgkmcnt(0)
	scratch_store_b128 off, v[0:3], off offset:20 ; 16-byte Folded Spill
	ds_load_b128 v[0:3], v226 offset:11040
	s_waitcnt lgkmcnt(0)
	scratch_store_b128 off, v[0:3], off offset:4 ; 16-byte Folded Spill
	ds_load_b128 v[0:3], v226 offset:13840
	;; [unrolled: 3-line block ×8, first 2 shown]
	s_waitcnt lgkmcnt(0)
	scratch_store_b128 off, v[0:3], off offset:132 ; 16-byte Folded Spill
.LBB0_7:
	s_or_b32 exec_lo, exec_lo, s0
	scratch_load_b128 v[2:5], off, off offset:1260 ; 16-byte Folded Reload
	s_mov_b32 s26, 0xf8bb580b
	s_mov_b32 s30, 0x8eee2c13
	;; [unrolled: 1-line block ×30, first 2 shown]
	s_waitcnt vmcnt(0) lgkmcnt(20)
	v_mul_f64 v[0:1], v[4:5], v[194:195]
	s_delay_alu instid0(VALU_DEP_1) | instskip(SKIP_1) | instid1(VALU_DEP_1)
	v_fma_f64 v[172:173], v[2:3], v[192:193], v[0:1]
	v_mul_f64 v[0:1], v[4:5], v[192:193]
	v_fma_f64 v[174:175], v[2:3], v[194:195], -v[0:1]
	scratch_load_b128 v[2:5], off, off offset:1732 ; 16-byte Folded Reload
	s_waitcnt vmcnt(0)
	v_mul_f64 v[0:1], v[4:5], v[186:187]
	s_delay_alu instid0(VALU_DEP_1) | instskip(SKIP_1) | instid1(VALU_DEP_1)
	v_fma_f64 v[192:193], v[2:3], v[184:185], v[0:1]
	v_mul_f64 v[0:1], v[4:5], v[184:185]
	v_fma_f64 v[184:185], v[2:3], v[186:187], -v[0:1]
	scratch_load_b128 v[2:5], off, off offset:1716 ; 16-byte Folded Reload
	s_waitcnt vmcnt(0) lgkmcnt(16)
	v_mul_f64 v[0:1], v[4:5], v[190:191]
	s_delay_alu instid0(VALU_DEP_1) | instskip(SKIP_1) | instid1(VALU_DEP_1)
	v_fma_f64 v[186:187], v[2:3], v[188:189], v[0:1]
	v_mul_f64 v[0:1], v[4:5], v[188:189]
	v_fma_f64 v[188:189], v[2:3], v[190:191], -v[0:1]
	scratch_load_b128 v[2:5], off, off offset:1700 ; 16-byte Folded Reload
	s_waitcnt vmcnt(0)
	v_mul_f64 v[0:1], v[4:5], v[170:171]
	s_delay_alu instid0(VALU_DEP_1) | instskip(SKIP_1) | instid1(VALU_DEP_1)
	v_fma_f64 v[194:195], v[2:3], v[168:169], v[0:1]
	v_mul_f64 v[0:1], v[4:5], v[168:169]
	v_fma_f64 v[204:205], v[2:3], v[170:171], -v[0:1]
	scratch_load_b128 v[2:5], off, off offset:1636 ; 16-byte Folded Reload
	s_waitcnt vmcnt(0) lgkmcnt(12)
	v_mul_f64 v[0:1], v[4:5], v[182:183]
	s_delay_alu instid0(VALU_DEP_1) | instskip(SKIP_1) | instid1(VALU_DEP_1)
	v_fma_f64 v[206:207], v[2:3], v[180:181], v[0:1]
	v_mul_f64 v[0:1], v[4:5], v[180:181]
	v_fma_f64 v[208:209], v[2:3], v[182:183], -v[0:1]
	scratch_load_b128 v[2:5], off, off offset:1604 ; 16-byte Folded Reload
	s_waitcnt vmcnt(0)
	v_mul_f64 v[0:1], v[4:5], v[162:163]
	s_delay_alu instid0(VALU_DEP_1) | instskip(SKIP_1) | instid1(VALU_DEP_2)
	v_fma_f64 v[210:211], v[2:3], v[160:161], v[0:1]
	v_mul_f64 v[0:1], v[4:5], v[160:161]
	v_add_f64 v[12:13], v[206:207], v[210:211]
	s_delay_alu instid0(VALU_DEP_2) | instskip(SKIP_4) | instid1(VALU_DEP_2)
	v_fma_f64 v[220:221], v[2:3], v[162:163], -v[0:1]
	scratch_load_b128 v[2:5], off, off offset:1892 ; 16-byte Folded Reload
	v_add_f64 v[18:19], v[206:207], -v[210:211]
	v_add_f64 v[252:253], v[208:209], -v[220:221]
	v_add_f64 v[16:17], v[208:209], v[220:221]
	v_mul_f64 v[14:15], v[252:253], s[20:21]
	s_waitcnt vmcnt(0) lgkmcnt(8)
	v_mul_f64 v[0:1], v[4:5], v[166:167]
	s_delay_alu instid0(VALU_DEP_1) | instskip(SKIP_1) | instid1(VALU_DEP_2)
	v_fma_f64 v[222:223], v[2:3], v[164:165], v[0:1]
	v_mul_f64 v[0:1], v[4:5], v[164:165]
	v_add_f64 v[246:247], v[194:195], v[222:223]
	s_delay_alu instid0(VALU_DEP_2)
	v_fma_f64 v[236:237], v[2:3], v[166:167], -v[0:1]
	scratch_load_b128 v[2:5], off, off offset:1876 ; 16-byte Folded Reload
	v_add_f64 v[250:251], v[194:195], -v[222:223]
	v_add_f64 v[244:245], v[204:205], -v[236:237]
	v_add_f64 v[248:249], v[204:205], v[236:237]
	s_waitcnt vmcnt(0)
	v_mul_f64 v[0:1], v[4:5], v[154:155]
	s_delay_alu instid0(VALU_DEP_1) | instskip(SKIP_1) | instid1(VALU_DEP_2)
	v_fma_f64 v[238:239], v[2:3], v[152:153], v[0:1]
	v_mul_f64 v[0:1], v[4:5], v[152:153]
	v_add_f64 v[230:231], v[186:187], v[238:239]
	s_delay_alu instid0(VALU_DEP_2)
	v_fma_f64 v[232:233], v[2:3], v[154:155], -v[0:1]
	scratch_load_b128 v[2:5], off, off offset:1844 ; 16-byte Folded Reload
	v_add_f64 v[242:243], v[186:187], -v[238:239]
	v_add_f64 v[228:229], v[188:189], -v[232:233]
	v_add_f64 v[240:241], v[188:189], v[232:233]
	s_waitcnt vmcnt(0) lgkmcnt(4)
	v_mul_f64 v[0:1], v[4:5], v[158:159]
	s_delay_alu instid0(VALU_DEP_1) | instskip(SKIP_1) | instid1(VALU_DEP_2)
	v_fma_f64 v[234:235], v[2:3], v[156:157], v[0:1]
	v_mul_f64 v[0:1], v[4:5], v[156:157]
	v_add_f64 v[176:177], v[192:193], v[234:235]
	s_delay_alu instid0(VALU_DEP_2) | instskip(SKIP_4) | instid1(VALU_DEP_1)
	v_fma_f64 v[216:217], v[2:3], v[158:159], -v[0:1]
	scratch_load_b128 v[2:5], off, off offset:1796 ; 16-byte Folded Reload
	v_add_f64 v[178:179], v[192:193], -v[234:235]
	s_waitcnt vmcnt(0)
	v_mul_f64 v[0:1], v[4:5], v[150:151]
	v_fma_f64 v[218:219], v[2:3], v[148:149], v[0:1]
	v_mul_f64 v[0:1], v[4:5], v[148:149]
	s_delay_alu instid0(VALU_DEP_2) | instskip(NEXT) | instid1(VALU_DEP_2)
	v_add_f64 v[10:11], v[172:173], v[218:219]
	v_fma_f64 v[198:199], v[2:3], v[150:151], -v[0:1]
	scratch_load_b128 v[2:5], off, off offset:1860 ; 16-byte Folded Reload
	s_waitcnt vmcnt(0)
	v_mul_f64 v[0:1], v[4:5], v[146:147]
	s_delay_alu instid0(VALU_DEP_1) | instskip(SKIP_1) | instid1(VALU_DEP_1)
	v_fma_f64 v[182:183], v[2:3], v[144:145], v[0:1]
	v_mul_f64 v[0:1], v[4:5], v[144:145]
	v_fma_f64 v[190:191], v[2:3], v[146:147], -v[0:1]
	scratch_load_b128 v[2:5], off, off offset:1828 ; 16-byte Folded Reload
	s_waitcnt vmcnt(0)
	v_mul_f64 v[0:1], v[4:5], v[138:139]
	s_delay_alu instid0(VALU_DEP_1) | instskip(SKIP_1) | instid1(VALU_DEP_1)
	v_fma_f64 v[164:165], v[2:3], v[136:137], v[0:1]
	v_mul_f64 v[0:1], v[4:5], v[136:137]
	;; [unrolled: 7-line block ×8, first 2 shown]
	v_fma_f64 v[202:203], v[2:3], v[114:115], -v[0:1]
	scratch_load_b128 v[2:5], off, off offset:1316 ; 16-byte Folded Reload
	v_add_f64 v[114:115], v[64:65], v[172:173]
	s_waitcnt vmcnt(0) lgkmcnt(2)
	v_mul_f64 v[0:1], v[4:5], v[118:119]
	s_delay_alu instid0(VALU_DEP_1) | instskip(SKIP_2) | instid1(VALU_DEP_2)
	v_fma_f64 v[212:213], v[2:3], v[116:117], v[0:1]
	v_mul_f64 v[0:1], v[4:5], v[116:117]
	v_add_f64 v[116:117], v[66:67], v[174:175]
	v_fma_f64 v[214:215], v[2:3], v[118:119], -v[0:1]
	scratch_load_b128 v[2:5], off, off offset:1332 ; 16-byte Folded Reload
	s_waitcnt vmcnt(0)
	v_mul_f64 v[0:1], v[4:5], v[110:111]
	s_delay_alu instid0(VALU_DEP_1) | instskip(SKIP_1) | instid1(VALU_DEP_1)
	v_fma_f64 v[224:225], v[2:3], v[108:109], v[0:1]
	v_mul_f64 v[0:1], v[4:5], v[108:109]
	v_fma_f64 v[124:125], v[2:3], v[110:111], -v[0:1]
	scratch_load_b128 v[2:5], off, off offset:1356 ; 16-byte Folded Reload
	s_waitcnt vmcnt(0)
	v_mul_f64 v[0:1], v[4:5], v[106:107]
	s_delay_alu instid0(VALU_DEP_1) | instskip(SKIP_1) | instid1(VALU_DEP_1)
	v_fma_f64 v[148:149], v[2:3], v[104:105], v[0:1]
	v_mul_f64 v[0:1], v[4:5], v[104:105]
	;; [unrolled: 7-line block ×3, first 2 shown]
	v_fma_f64 v[142:143], v[2:3], v[102:103], -v[0:1]
	scratch_load_b128 v[2:5], off, off offset:1388 ; 16-byte Folded Reload
	v_add_f64 v[102:103], v[172:173], -v[218:219]
	s_waitcnt vmcnt(0)
	v_mul_f64 v[0:1], v[4:5], v[98:99]
	s_delay_alu instid0(VALU_DEP_1) | instskip(SKIP_1) | instid1(VALU_DEP_1)
	v_fma_f64 v[140:141], v[2:3], v[96:97], v[0:1]
	v_mul_f64 v[0:1], v[4:5], v[96:97]
	v_fma_f64 v[144:145], v[2:3], v[98:99], -v[0:1]
	scratch_load_b128 v[2:5], off, off offset:1404 ; 16-byte Folded Reload
	s_waitcnt vmcnt(0)
	v_mul_f64 v[0:1], v[4:5], v[94:95]
	s_delay_alu instid0(VALU_DEP_1) | instskip(SKIP_1) | instid1(VALU_DEP_1)
	v_fma_f64 v[134:135], v[2:3], v[92:93], v[0:1]
	v_mul_f64 v[0:1], v[4:5], v[92:93]
	v_fma_f64 v[136:137], v[2:3], v[94:95], -v[0:1]
	scratch_load_b128 v[2:5], off, off offset:1424 ; 16-byte Folded Reload
	;; [unrolled: 7-line block ×6, first 2 shown]
	s_waitcnt vmcnt(0) lgkmcnt(1)
	v_mul_f64 v[0:1], v[4:5], v[74:75]
	s_delay_alu instid0(VALU_DEP_1) | instskip(SKIP_1) | instid1(VALU_DEP_1)
	v_fma_f64 v[78:79], v[2:3], v[72:73], v[0:1]
	v_mul_f64 v[0:1], v[4:5], v[72:73]
	v_fma_f64 v[72:73], v[2:3], v[74:75], -v[0:1]
	scratch_load_b128 v[2:5], off, off offset:1148 ; 16-byte Folded Reload
	s_waitcnt vmcnt(0) lgkmcnt(0)
	s_waitcnt_vscnt null, 0x0
	s_barrier
	buffer_gl0_inv
	v_mul_f64 v[0:1], v[4:5], v[70:71]
	s_delay_alu instid0(VALU_DEP_1) | instskip(SKIP_1) | instid1(VALU_DEP_1)
	v_fma_f64 v[74:75], v[2:3], v[68:69], v[0:1]
	v_mul_f64 v[0:1], v[4:5], v[68:69]
	v_fma_f64 v[146:147], v[2:3], v[70:71], -v[0:1]
	v_add_f64 v[0:1], v[174:175], -v[198:199]
	s_delay_alu instid0(VALU_DEP_1)
	v_mul_f64 v[2:3], v[0:1], s[26:27]
	v_mul_f64 v[4:5], v[0:1], s[30:31]
	;; [unrolled: 1-line block ×5, first 2 shown]
	v_fma_f64 v[68:69], v[10:11], s[0:1], v[2:3]
	v_fma_f64 v[2:3], v[10:11], s[0:1], -v[2:3]
	v_fma_f64 v[70:71], v[10:11], s[8:9], v[4:5]
	v_fma_f64 v[4:5], v[10:11], s[8:9], -v[4:5]
	;; [unrolled: 2-line block ×5, first 2 shown]
	v_add_f64 v[10:11], v[174:175], v[198:199]
	v_add_f64 v[174:175], v[184:185], -v[216:217]
	v_add_f64 v[68:69], v[64:65], v[68:69]
	v_add_f64 v[70:71], v[64:65], v[70:71]
	;; [unrolled: 1-line block ×9, first 2 shown]
	v_mul_f64 v[94:95], v[10:11], s[0:1]
	v_mul_f64 v[96:97], v[10:11], s[8:9]
	;; [unrolled: 1-line block ×6, first 2 shown]
	v_fma_f64 v[104:105], v[102:103], s[22:23], v[94:95]
	v_fma_f64 v[94:95], v[102:103], s[26:27], v[94:95]
	;; [unrolled: 1-line block ×11, first 2 shown]
	v_add_f64 v[102:103], v[66:67], v[104:105]
	v_add_f64 v[104:105], v[64:65], v[2:3]
	v_mul_f64 v[64:65], v[174:175], s[30:31]
	v_add_f64 v[94:95], v[66:67], v[94:95]
	v_add_f64 v[106:107], v[66:67], v[106:107]
	;; [unrolled: 1-line block ×9, first 2 shown]
	v_fma_f64 v[0:1], v[176:177], s[8:9], v[64:65]
	s_delay_alu instid0(VALU_DEP_1) | instskip(SKIP_1) | instid1(VALU_DEP_2)
	v_add_f64 v[0:1], v[0:1], v[68:69]
	v_add_f64 v[68:69], v[184:185], v[216:217]
	;; [unrolled: 1-line block ×3, first 2 shown]
	s_delay_alu instid0(VALU_DEP_2) | instskip(SKIP_1) | instid1(VALU_DEP_2)
	v_mul_f64 v[66:67], v[68:69], s[8:9]
	v_mul_f64 v[90:91], v[240:241], s[14:15]
	v_fma_f64 v[2:3], v[178:179], s[24:25], v[66:67]
	s_delay_alu instid0(VALU_DEP_2) | instskip(SKIP_1) | instid1(VALU_DEP_3)
	v_fma_f64 v[92:93], v[242:243], s[28:29], v[90:91]
	v_fma_f64 v[22:23], v[178:179], s[30:31], v[66:67]
	v_add_f64 v[2:3], v[2:3], v[102:103]
	s_delay_alu instid0(VALU_DEP_2) | instskip(NEXT) | instid1(VALU_DEP_2)
	v_add_f64 v[22:23], v[22:23], v[94:95]
	v_add_f64 v[2:3], v[92:93], v[2:3]
	v_mul_f64 v[92:93], v[244:245], s[18:19]
	s_delay_alu instid0(VALU_DEP_1) | instskip(NEXT) | instid1(VALU_DEP_1)
	v_fma_f64 v[100:101], v[246:247], s[12:13], v[92:93]
	v_add_f64 v[0:1], v[100:101], v[0:1]
	v_mul_f64 v[100:101], v[248:249], s[12:13]
	s_delay_alu instid0(VALU_DEP_1) | instskip(NEXT) | instid1(VALU_DEP_1)
	v_fma_f64 v[102:103], v[250:251], s[36:37], v[100:101]
	v_add_f64 v[2:3], v[102:103], v[2:3]
	v_fma_f64 v[102:103], v[12:13], s[10:11], v[14:15]
	v_fma_f64 v[14:15], v[12:13], s[10:11], -v[14:15]
	s_delay_alu instid0(VALU_DEP_2) | instskip(SKIP_1) | instid1(VALU_DEP_1)
	v_add_f64 v[0:1], v[102:103], v[0:1]
	v_mul_f64 v[102:103], v[16:17], s[10:11]
	v_fma_f64 v[20:21], v[18:19], s[34:35], v[102:103]
	v_fma_f64 v[66:67], v[18:19], s[20:21], v[102:103]
	v_mul_f64 v[102:103], v[248:249], s[14:15]
	s_delay_alu instid0(VALU_DEP_3) | instskip(SKIP_3) | instid1(VALU_DEP_3)
	v_add_f64 v[2:3], v[20:21], v[2:3]
	v_fma_f64 v[20:21], v[176:177], s[8:9], -v[64:65]
	v_fma_f64 v[64:65], v[230:231], s[14:15], -v[88:89]
	v_mul_f64 v[88:89], v[228:229], s[34:35]
	v_add_f64 v[20:21], v[20:21], v[104:105]
	v_mul_f64 v[104:105], v[252:253], s[22:23]
	s_delay_alu instid0(VALU_DEP_2) | instskip(SKIP_2) | instid1(VALU_DEP_2)
	v_add_f64 v[20:21], v[64:65], v[20:21]
	v_fma_f64 v[64:65], v[242:243], s[16:17], v[90:91]
	v_fma_f64 v[90:91], v[230:231], s[10:11], v[88:89]
	v_add_f64 v[22:23], v[64:65], v[22:23]
	v_fma_f64 v[64:65], v[246:247], s[12:13], -v[92:93]
	s_delay_alu instid0(VALU_DEP_1) | instskip(SKIP_2) | instid1(VALU_DEP_2)
	v_add_f64 v[20:21], v[64:65], v[20:21]
	v_fma_f64 v[64:65], v[250:251], s[18:19], v[100:101]
	v_mul_f64 v[100:101], v[244:245], s[28:29]
	v_add_f64 v[22:23], v[64:65], v[22:23]
	s_delay_alu instid0(VALU_DEP_4) | instskip(SKIP_1) | instid1(VALU_DEP_3)
	v_add_f64 v[64:65], v[14:15], v[20:21]
	v_mul_f64 v[14:15], v[174:175], s[18:19]
	v_add_f64 v[66:67], v[66:67], v[22:23]
	v_mul_f64 v[22:23], v[68:69], s[12:13]
	s_delay_alu instid0(VALU_DEP_3) | instskip(SKIP_1) | instid1(VALU_DEP_2)
	v_fma_f64 v[20:21], v[176:177], s[12:13], v[14:15]
	v_fma_f64 v[14:15], v[176:177], s[12:13], -v[14:15]
	v_add_f64 v[20:21], v[20:21], v[70:71]
	s_delay_alu instid0(VALU_DEP_4) | instskip(NEXT) | instid1(VALU_DEP_3)
	v_fma_f64 v[70:71], v[178:179], s[36:37], v[22:23]
	v_add_f64 v[4:5], v[14:15], v[4:5]
	v_fma_f64 v[14:15], v[178:179], s[18:19], v[22:23]
	v_fma_f64 v[22:23], v[230:231], s[10:11], -v[88:89]
	v_add_f64 v[20:21], v[90:91], v[20:21]
	v_mul_f64 v[90:91], v[240:241], s[10:11]
	v_add_f64 v[70:71], v[70:71], v[106:107]
	v_add_f64 v[14:15], v[14:15], v[96:97]
	;; [unrolled: 1-line block ×3, first 2 shown]
	v_mul_f64 v[106:107], v[248:249], s[0:1]
	v_fma_f64 v[92:93], v[242:243], s[20:21], v[90:91]
	v_fma_f64 v[22:23], v[242:243], s[34:35], v[90:91]
	s_delay_alu instid0(VALU_DEP_2) | instskip(SKIP_1) | instid1(VALU_DEP_3)
	v_add_f64 v[70:71], v[92:93], v[70:71]
	v_fma_f64 v[92:93], v[246:247], s[14:15], v[100:101]
	v_add_f64 v[14:15], v[22:23], v[14:15]
	v_fma_f64 v[22:23], v[246:247], s[14:15], -v[100:101]
	s_delay_alu instid0(VALU_DEP_3) | instskip(SKIP_1) | instid1(VALU_DEP_3)
	v_add_f64 v[20:21], v[92:93], v[20:21]
	v_fma_f64 v[92:93], v[250:251], s[16:17], v[102:103]
	v_add_f64 v[4:5], v[22:23], v[4:5]
	v_fma_f64 v[22:23], v[250:251], s[28:29], v[102:103]
	s_delay_alu instid0(VALU_DEP_3) | instskip(SKIP_1) | instid1(VALU_DEP_3)
	v_add_f64 v[70:71], v[92:93], v[70:71]
	v_fma_f64 v[92:93], v[12:13], s[0:1], v[104:105]
	v_add_f64 v[14:15], v[22:23], v[14:15]
	v_fma_f64 v[22:23], v[12:13], s[0:1], -v[104:105]
	v_mul_f64 v[104:105], v[244:245], s[26:27]
	s_delay_alu instid0(VALU_DEP_4) | instskip(SKIP_1) | instid1(VALU_DEP_4)
	v_add_f64 v[92:93], v[92:93], v[20:21]
	v_mul_f64 v[20:21], v[16:17], s[0:1]
	v_add_f64 v[88:89], v[22:23], v[4:5]
	v_mul_f64 v[4:5], v[174:175], s[34:35]
	s_delay_alu instid0(VALU_DEP_3) | instskip(SKIP_1) | instid1(VALU_DEP_2)
	v_fma_f64 v[94:95], v[18:19], s[26:27], v[20:21]
	v_fma_f64 v[20:21], v[18:19], s[22:23], v[20:21]
	v_add_f64 v[94:95], v[94:95], v[70:71]
	s_delay_alu instid0(VALU_DEP_2) | instskip(SKIP_4) | instid1(VALU_DEP_4)
	v_add_f64 v[90:91], v[20:21], v[14:15]
	v_fma_f64 v[14:15], v[176:177], s[10:11], v[4:5]
	v_mul_f64 v[70:71], v[228:229], s[24:25]
	v_mul_f64 v[20:21], v[68:69], s[10:11]
	v_fma_f64 v[4:5], v[176:177], s[10:11], -v[4:5]
	v_add_f64 v[14:15], v[14:15], v[118:119]
	s_delay_alu instid0(VALU_DEP_4) | instskip(NEXT) | instid1(VALU_DEP_4)
	v_fma_f64 v[96:97], v[230:231], s[8:9], v[70:71]
	v_fma_f64 v[22:23], v[178:179], s[20:21], v[20:21]
	s_delay_alu instid0(VALU_DEP_4)
	v_add_f64 v[4:5], v[4:5], v[6:7]
	v_fma_f64 v[6:7], v[178:179], s[34:35], v[20:21]
	v_fma_f64 v[20:21], v[230:231], s[8:9], -v[70:71]
	v_mul_f64 v[118:119], v[252:253], s[24:25]
	v_add_f64 v[14:15], v[96:97], v[14:15]
	v_mul_f64 v[96:97], v[240:241], s[8:9]
	v_add_f64 v[22:23], v[22:23], v[108:109]
	v_add_f64 v[6:7], v[6:7], v[98:99]
	;; [unrolled: 1-line block ×3, first 2 shown]
	v_mul_f64 v[108:109], v[252:253], s[18:19]
	v_fma_f64 v[100:101], v[242:243], s[30:31], v[96:97]
	v_fma_f64 v[20:21], v[242:243], s[24:25], v[96:97]
	s_delay_alu instid0(VALU_DEP_2) | instskip(SKIP_1) | instid1(VALU_DEP_3)
	v_add_f64 v[22:23], v[100:101], v[22:23]
	v_fma_f64 v[100:101], v[246:247], s[0:1], v[104:105]
	v_add_f64 v[6:7], v[20:21], v[6:7]
	v_fma_f64 v[20:21], v[246:247], s[0:1], -v[104:105]
	s_delay_alu instid0(VALU_DEP_3) | instskip(SKIP_1) | instid1(VALU_DEP_3)
	v_add_f64 v[14:15], v[100:101], v[14:15]
	v_fma_f64 v[100:101], v[250:251], s[22:23], v[106:107]
	v_add_f64 v[4:5], v[20:21], v[4:5]
	v_fma_f64 v[20:21], v[250:251], s[26:27], v[106:107]
	s_delay_alu instid0(VALU_DEP_3) | instskip(SKIP_1) | instid1(VALU_DEP_3)
	v_add_f64 v[22:23], v[100:101], v[22:23]
	v_fma_f64 v[100:101], v[12:13], s[12:13], v[108:109]
	v_add_f64 v[6:7], v[20:21], v[6:7]
	v_fma_f64 v[20:21], v[12:13], s[12:13], -v[108:109]
	v_mul_f64 v[108:109], v[244:245], s[20:21]
	s_delay_alu instid0(VALU_DEP_4) | instskip(SKIP_1) | instid1(VALU_DEP_4)
	v_add_f64 v[100:101], v[100:101], v[14:15]
	v_mul_f64 v[14:15], v[16:17], s[12:13]
	v_add_f64 v[96:97], v[20:21], v[4:5]
	v_mul_f64 v[4:5], v[174:175], s[28:29]
	s_delay_alu instid0(VALU_DEP_3) | instskip(SKIP_1) | instid1(VALU_DEP_2)
	v_fma_f64 v[102:103], v[18:19], s[36:37], v[14:15]
	v_fma_f64 v[14:15], v[18:19], s[18:19], v[14:15]
	v_add_f64 v[102:103], v[102:103], v[22:23]
	s_delay_alu instid0(VALU_DEP_2) | instskip(SKIP_4) | instid1(VALU_DEP_4)
	v_add_f64 v[98:99], v[14:15], v[6:7]
	v_fma_f64 v[6:7], v[176:177], s[14:15], v[4:5]
	v_mul_f64 v[22:23], v[228:229], s[26:27]
	v_mul_f64 v[14:15], v[68:69], s[14:15]
	v_fma_f64 v[4:5], v[176:177], s[14:15], -v[4:5]
	v_add_f64 v[6:7], v[6:7], v[120:121]
	s_delay_alu instid0(VALU_DEP_4) | instskip(NEXT) | instid1(VALU_DEP_4)
	v_fma_f64 v[70:71], v[230:231], s[0:1], v[22:23]
	v_fma_f64 v[20:21], v[178:179], s[16:17], v[14:15]
	s_delay_alu instid0(VALU_DEP_4)
	v_add_f64 v[4:5], v[4:5], v[8:9]
	v_fma_f64 v[8:9], v[178:179], s[28:29], v[14:15]
	v_fma_f64 v[14:15], v[230:231], s[0:1], -v[22:23]
	v_mul_f64 v[120:121], v[252:253], s[16:17]
	v_add_f64 v[6:7], v[70:71], v[6:7]
	v_mul_f64 v[70:71], v[240:241], s[0:1]
	v_add_f64 v[20:21], v[20:21], v[110:111]
	;; [unrolled: 2-line block ×3, first 2 shown]
	v_add_f64 v[4:5], v[14:15], v[4:5]
	v_fma_f64 v[104:105], v[242:243], s[22:23], v[70:71]
	v_fma_f64 v[14:15], v[242:243], s[26:27], v[70:71]
	s_delay_alu instid0(VALU_DEP_2) | instskip(SKIP_1) | instid1(VALU_DEP_3)
	v_add_f64 v[20:21], v[104:105], v[20:21]
	v_fma_f64 v[104:105], v[246:247], s[10:11], v[108:109]
	v_add_f64 v[8:9], v[14:15], v[8:9]
	v_fma_f64 v[14:15], v[246:247], s[10:11], -v[108:109]
	s_delay_alu instid0(VALU_DEP_3) | instskip(SKIP_1) | instid1(VALU_DEP_3)
	v_add_f64 v[6:7], v[104:105], v[6:7]
	v_fma_f64 v[104:105], v[250:251], s[34:35], v[110:111]
	v_add_f64 v[4:5], v[14:15], v[4:5]
	v_fma_f64 v[14:15], v[250:251], s[20:21], v[110:111]
	s_delay_alu instid0(VALU_DEP_3) | instskip(SKIP_1) | instid1(VALU_DEP_3)
	v_add_f64 v[20:21], v[104:105], v[20:21]
	v_fma_f64 v[104:105], v[12:13], s[8:9], v[118:119]
	v_add_f64 v[8:9], v[14:15], v[8:9]
	v_fma_f64 v[14:15], v[12:13], s[8:9], -v[118:119]
	s_delay_alu instid0(VALU_DEP_3) | instskip(SKIP_1) | instid1(VALU_DEP_3)
	v_add_f64 v[104:105], v[104:105], v[6:7]
	v_mul_f64 v[6:7], v[16:17], s[8:9]
	v_add_f64 v[108:109], v[14:15], v[4:5]
	v_add_f64 v[4:5], v[114:115], v[192:193]
	v_mul_f64 v[16:17], v[16:17], s[14:15]
	s_delay_alu instid0(VALU_DEP_4) | instskip(SKIP_1) | instid1(VALU_DEP_4)
	v_fma_f64 v[106:107], v[18:19], s[30:31], v[6:7]
	v_fma_f64 v[6:7], v[18:19], s[24:25], v[6:7]
	v_add_f64 v[4:5], v[4:5], v[186:187]
	s_delay_alu instid0(VALU_DEP_3) | instskip(NEXT) | instid1(VALU_DEP_3)
	v_add_f64 v[106:107], v[106:107], v[20:21]
	v_add_f64 v[110:111], v[6:7], v[8:9]
	v_add_f64 v[6:7], v[116:117], v[184:185]
	s_delay_alu instid0(VALU_DEP_4) | instskip(SKIP_2) | instid1(VALU_DEP_4)
	v_add_f64 v[4:5], v[4:5], v[194:195]
	v_mul_f64 v[20:21], v[228:229], s[18:19]
	v_mul_f64 v[8:9], v[68:69], s[0:1]
	v_add_f64 v[6:7], v[6:7], v[188:189]
	s_delay_alu instid0(VALU_DEP_4) | instskip(NEXT) | instid1(VALU_DEP_4)
	v_add_f64 v[4:5], v[4:5], v[206:207]
	v_fma_f64 v[22:23], v[230:231], s[12:13], v[20:21]
	s_delay_alu instid0(VALU_DEP_4)
	v_fma_f64 v[14:15], v[178:179], s[26:27], v[8:9]
	v_add_f64 v[206:207], v[166:167], -v[214:215]
	v_add_f64 v[6:7], v[6:7], v[204:205]
	v_add_f64 v[4:5], v[4:5], v[210:211]
	v_add_f64 v[204:205], v[180:181], -v[202:203]
	v_add_f64 v[14:15], v[14:15], v[112:113]
	s_delay_alu instid0(VALU_DEP_4) | instskip(NEXT) | instid1(VALU_DEP_4)
	v_add_f64 v[6:7], v[6:7], v[208:209]
	v_add_f64 v[4:5], v[4:5], v[222:223]
	s_delay_alu instid0(VALU_DEP_2) | instskip(NEXT) | instid1(VALU_DEP_2)
	v_add_f64 v[6:7], v[6:7], v[220:221]
	v_add_f64 v[4:5], v[4:5], v[238:239]
	s_delay_alu instid0(VALU_DEP_2) | instskip(NEXT) | instid1(VALU_DEP_2)
	;; [unrolled: 3-line block ×3, first 2 shown]
	v_add_f64 v[6:7], v[6:7], v[232:233]
	v_add_f64 v[116:117], v[4:5], v[218:219]
	v_mul_f64 v[4:5], v[174:175], s[22:23]
	s_delay_alu instid0(VALU_DEP_3) | instskip(NEXT) | instid1(VALU_DEP_1)
	v_add_f64 v[6:7], v[6:7], v[216:217]
	v_add_f64 v[118:119], v[6:7], v[198:199]
	s_delay_alu instid0(VALU_DEP_3) | instskip(SKIP_2) | instid1(VALU_DEP_3)
	v_fma_f64 v[6:7], v[176:177], s[0:1], v[4:5]
	v_fma_f64 v[4:5], v[176:177], s[0:1], -v[4:5]
	v_add_f64 v[198:199], v[166:167], v[214:215]
	v_add_f64 v[6:7], v[6:7], v[126:127]
	s_delay_alu instid0(VALU_DEP_3) | instskip(NEXT) | instid1(VALU_DEP_2)
	v_add_f64 v[4:5], v[4:5], v[172:173]
	v_add_f64 v[6:7], v[22:23], v[6:7]
	v_mul_f64 v[22:23], v[240:241], s[12:13]
	s_delay_alu instid0(VALU_DEP_1) | instskip(NEXT) | instid1(VALU_DEP_1)
	v_fma_f64 v[68:69], v[242:243], s[36:37], v[22:23]
	v_add_f64 v[14:15], v[68:69], v[14:15]
	v_mul_f64 v[68:69], v[244:245], s[24:25]
	v_add_f64 v[244:245], v[58:59], v[150:151]
	s_delay_alu instid0(VALU_DEP_2) | instskip(NEXT) | instid1(VALU_DEP_1)
	v_fma_f64 v[70:71], v[246:247], s[8:9], v[68:69]
	v_add_f64 v[6:7], v[70:71], v[6:7]
	v_mul_f64 v[70:71], v[248:249], s[8:9]
	s_delay_alu instid0(VALU_DEP_1) | instskip(NEXT) | instid1(VALU_DEP_1)
	v_fma_f64 v[112:113], v[250:251], s[30:31], v[70:71]
	v_add_f64 v[14:15], v[112:113], v[14:15]
	v_fma_f64 v[112:113], v[12:13], s[14:15], v[120:121]
	s_delay_alu instid0(VALU_DEP_1) | instskip(SKIP_1) | instid1(VALU_DEP_1)
	v_add_f64 v[112:113], v[112:113], v[6:7]
	v_fma_f64 v[6:7], v[18:19], s[28:29], v[16:17]
	v_add_f64 v[114:115], v[6:7], v[14:15]
	v_fma_f64 v[6:7], v[178:179], s[22:23], v[8:9]
	v_fma_f64 v[8:9], v[230:231], s[12:13], -v[20:21]
	v_fma_f64 v[14:15], v[242:243], s[18:19], v[22:23]
	v_fma_f64 v[20:21], v[250:251], s[24:25], v[70:71]
	v_add_f64 v[242:243], v[56:57], v[148:149]
	v_add_f64 v[6:7], v[6:7], v[10:11]
	v_fma_f64 v[10:11], v[246:247], s[8:9], -v[68:69]
	v_add_f64 v[4:5], v[8:9], v[4:5]
	v_fma_f64 v[8:9], v[12:13], s[14:15], -v[120:121]
	s_delay_alu instid0(VALU_DEP_4) | instskip(NEXT) | instid1(VALU_DEP_3)
	v_add_f64 v[6:7], v[14:15], v[6:7]
	v_add_f64 v[4:5], v[10:11], v[4:5]
	v_fma_f64 v[10:11], v[18:19], s[16:17], v[16:17]
	s_delay_alu instid0(VALU_DEP_3) | instskip(NEXT) | instid1(VALU_DEP_3)
	v_add_f64 v[6:7], v[20:21], v[6:7]
	v_add_f64 v[120:121], v[8:9], v[4:5]
	;; [unrolled: 1-line block ×3, first 2 shown]
	v_add_f64 v[8:9], v[190:191], -v[124:125]
	s_delay_alu instid0(VALU_DEP_4)
	v_add_f64 v[122:123], v[10:11], v[6:7]
	v_add_f64 v[6:7], v[60:61], v[182:183]
	;; [unrolled: 1-line block ×4, first 2 shown]
	v_mul_f64 v[12:13], v[8:9], s[26:27]
	v_mul_f64 v[14:15], v[8:9], s[30:31]
	;; [unrolled: 1-line block ×5, first 2 shown]
	v_add_f64 v[166:167], v[164:165], v[212:213]
	v_add_f64 v[6:7], v[6:7], v[164:165]
	v_mul_f64 v[174:175], v[10:11], s[8:9]
	v_add_f64 v[4:5], v[4:5], v[180:181]
	v_mul_f64 v[176:177], v[10:11], s[14:15]
	v_mul_f64 v[178:179], v[10:11], s[12:13]
	v_add_f64 v[164:165], v[164:165], -v[212:213]
	v_add_f64 v[6:7], v[6:7], v[168:169]
	v_add_f64 v[4:5], v[4:5], v[170:171]
	s_delay_alu instid0(VALU_DEP_2) | instskip(NEXT) | instid1(VALU_DEP_2)
	v_add_f64 v[6:7], v[6:7], v[158:159]
	v_add_f64 v[4:5], v[4:5], v[156:157]
	s_delay_alu instid0(VALU_DEP_2) | instskip(NEXT) | instid1(VALU_DEP_2)
	;; [unrolled: 3-line block ×6, first 2 shown]
	v_add_f64 v[6:7], v[6:7], v[212:213]
	v_add_f64 v[126:127], v[4:5], v[124:125]
	;; [unrolled: 1-line block ×3, first 2 shown]
	s_delay_alu instid0(VALU_DEP_3) | instskip(SKIP_1) | instid1(VALU_DEP_3)
	v_add_f64 v[124:125], v[6:7], v[224:225]
	v_add_f64 v[6:7], v[182:183], -v[224:225]
	v_fma_f64 v[20:21], v[4:5], s[0:1], v[12:13]
	v_fma_f64 v[12:13], v[4:5], s[0:1], -v[12:13]
	v_fma_f64 v[22:23], v[4:5], s[8:9], v[14:15]
	v_fma_f64 v[14:15], v[4:5], s[8:9], -v[14:15]
	;; [unrolled: 2-line block ×5, first 2 shown]
	v_mul_f64 v[4:5], v[10:11], s[0:1]
	v_mul_f64 v[10:11], v[10:11], s[10:11]
	v_fma_f64 v[184:185], v[6:7], s[24:25], v[174:175]
	v_fma_f64 v[174:175], v[6:7], s[30:31], v[174:175]
	;; [unrolled: 1-line block ×6, first 2 shown]
	v_add_f64 v[12:13], v[60:61], v[12:13]
	v_add_f64 v[218:219], v[60:61], v[16:17]
	v_mul_f64 v[16:17], v[204:205], s[16:17]
	v_add_f64 v[194:195], v[60:61], v[18:19]
	v_add_f64 v[236:237], v[60:61], v[22:23]
	;; [unrolled: 1-line block ×3, first 2 shown]
	v_fma_f64 v[182:183], v[6:7], s[22:23], v[4:5]
	v_fma_f64 v[4:5], v[6:7], s[26:27], v[4:5]
	;; [unrolled: 1-line block ×4, first 2 shown]
	v_add_f64 v[10:11], v[60:61], v[20:21]
	v_add_f64 v[210:211], v[60:61], v[70:71]
	;; [unrolled: 1-line block ×13, first 2 shown]
	v_mul_f64 v[6:7], v[206:207], s[30:31]
	v_add_f64 v[192:193], v[180:181], v[202:203]
	v_add_f64 v[180:181], v[168:169], v[200:201]
	;; [unrolled: 1-line block ×4, first 2 shown]
	v_add_f64 v[168:169], v[168:169], -v[200:201]
	v_add_f64 v[200:201], v[170:171], -v[196:197]
	v_add_f64 v[170:171], v[170:171], v[196:197]
	v_add_f64 v[196:197], v[158:159], v[162:163]
	v_add_f64 v[158:159], v[158:159], -v[162:163]
	v_add_f64 v[162:163], v[156:157], -v[160:161]
	v_add_f64 v[156:157], v[156:157], v[160:161]
	v_add_f64 v[160:161], v[152:153], v[154:155]
	v_add_f64 v[152:153], v[152:153], -v[154:155]
	v_add_f64 v[202:203], v[148:149], -v[74:75]
	v_fma_f64 v[8:9], v[166:167], s[8:9], v[6:7]
	v_fma_f64 v[6:7], v[166:167], s[8:9], -v[6:7]
	v_fma_f64 v[18:19], v[180:181], s[14:15], v[16:17]
	s_delay_alu instid0(VALU_DEP_3) | instskip(SKIP_1) | instid1(VALU_DEP_4)
	v_add_f64 v[8:9], v[8:9], v[10:11]
	v_mul_f64 v[10:11], v[198:199], s[8:9]
	v_add_f64 v[6:7], v[6:7], v[12:13]
	v_fma_f64 v[12:13], v[180:181], s[14:15], -v[16:17]
	v_add_f64 v[16:17], v[148:149], v[74:75]
	v_add_f64 v[8:9], v[18:19], v[8:9]
	v_fma_f64 v[14:15], v[164:165], s[24:25], v[10:11]
	v_mul_f64 v[18:19], v[192:193], s[14:15]
	v_fma_f64 v[10:11], v[164:165], s[30:31], v[10:11]
	v_add_f64 v[6:7], v[12:13], v[6:7]
	s_delay_alu instid0(VALU_DEP_4) | instskip(NEXT) | instid1(VALU_DEP_4)
	v_add_f64 v[14:15], v[14:15], v[20:21]
	v_fma_f64 v[20:21], v[168:169], s[28:29], v[18:19]
	s_delay_alu instid0(VALU_DEP_4) | instskip(SKIP_1) | instid1(VALU_DEP_3)
	v_add_f64 v[10:11], v[10:11], v[228:229]
	v_fma_f64 v[12:13], v[168:169], s[16:17], v[18:19]
	v_add_f64 v[14:15], v[20:21], v[14:15]
	v_mul_f64 v[20:21], v[200:201], s[18:19]
	s_delay_alu instid0(VALU_DEP_3) | instskip(NEXT) | instid1(VALU_DEP_2)
	v_add_f64 v[10:11], v[12:13], v[10:11]
	v_fma_f64 v[22:23], v[196:197], s[12:13], v[20:21]
	v_fma_f64 v[12:13], v[196:197], s[12:13], -v[20:21]
	s_delay_alu instid0(VALU_DEP_2) | instskip(SKIP_1) | instid1(VALU_DEP_3)
	v_add_f64 v[8:9], v[22:23], v[8:9]
	v_mul_f64 v[22:23], v[170:171], s[12:13]
	v_add_f64 v[6:7], v[12:13], v[6:7]
	s_delay_alu instid0(VALU_DEP_2) | instskip(SKIP_1) | instid1(VALU_DEP_2)
	v_fma_f64 v[60:61], v[158:159], s[36:37], v[22:23]
	v_fma_f64 v[12:13], v[158:159], s[18:19], v[22:23]
	v_add_f64 v[14:15], v[60:61], v[14:15]
	v_mul_f64 v[60:61], v[162:163], s[20:21]
	s_delay_alu instid0(VALU_DEP_3) | instskip(NEXT) | instid1(VALU_DEP_2)
	v_add_f64 v[10:11], v[12:13], v[10:11]
	v_fma_f64 v[62:63], v[160:161], s[10:11], v[60:61]
	v_fma_f64 v[12:13], v[160:161], s[10:11], -v[60:61]
	s_delay_alu instid0(VALU_DEP_2) | instskip(SKIP_1) | instid1(VALU_DEP_3)
	v_add_f64 v[68:69], v[62:63], v[8:9]
	v_mul_f64 v[8:9], v[156:157], s[10:11]
	v_add_f64 v[60:61], v[12:13], v[6:7]
	v_add_f64 v[6:7], v[150:151], -v[146:147]
	s_delay_alu instid0(VALU_DEP_3) | instskip(SKIP_1) | instid1(VALU_DEP_3)
	v_fma_f64 v[62:63], v[152:153], s[34:35], v[8:9]
	v_fma_f64 v[8:9], v[152:153], s[20:21], v[8:9]
	v_mul_f64 v[12:13], v[6:7], s[16:17]
	s_delay_alu instid0(VALU_DEP_3) | instskip(NEXT) | instid1(VALU_DEP_3)
	v_add_f64 v[70:71], v[62:63], v[14:15]
	v_add_f64 v[62:63], v[8:9], v[10:11]
	v_mul_f64 v[8:9], v[6:7], s[26:27]
	v_mul_f64 v[10:11], v[6:7], s[30:31]
	;; [unrolled: 1-line block ×4, first 2 shown]
	v_fma_f64 v[22:23], v[16:17], s[14:15], v[12:13]
	v_fma_f64 v[12:13], v[16:17], s[14:15], -v[12:13]
	v_fma_f64 v[18:19], v[16:17], s[0:1], v[8:9]
	v_fma_f64 v[8:9], v[16:17], s[0:1], -v[8:9]
	;; [unrolled: 2-line block ×5, first 2 shown]
	v_add_f64 v[16:17], v[150:151], v[146:147]
	v_add_f64 v[240:241], v[56:57], v[22:23]
	;; [unrolled: 1-line block ×6, first 2 shown]
	v_mul_f64 v[174:175], v[16:17], s[14:15]
	v_mul_f64 v[172:173], v[16:17], s[8:9]
	;; [unrolled: 1-line block ×5, first 2 shown]
	v_fma_f64 v[232:233], v[202:203], s[28:29], v[174:175]
	v_fma_f64 v[214:215], v[202:203], s[24:25], v[172:173]
	;; [unrolled: 1-line block ×10, first 2 shown]
	v_add_f64 v[172:173], v[56:57], v[10:11]
	v_add_f64 v[202:203], v[56:57], v[12:13]
	v_mul_f64 v[10:11], v[198:199], s[12:13]
	v_add_f64 v[178:179], v[58:59], v[232:233]
	v_add_f64 v[232:233], v[56:57], v[228:229]
	;; [unrolled: 1-line block ×3, first 2 shown]
	v_mul_f64 v[6:7], v[206:207], s[18:19]
	v_add_f64 v[246:247], v[58:59], v[214:215]
	v_add_f64 v[214:215], v[56:57], v[14:15]
	v_mul_f64 v[14:15], v[204:205], s[34:35]
	v_add_f64 v[56:57], v[58:59], v[16:17]
	v_add_f64 v[250:251], v[58:59], v[212:213]
	;; [unrolled: 1-line block ×5, first 2 shown]
	v_fma_f64 v[12:13], v[164:165], s[36:37], v[10:11]
	v_add_f64 v[230:231], v[58:59], v[26:27]
	v_add_f64 v[174:175], v[58:59], v[174:175]
	v_add_f64 v[238:239], v[58:59], v[238:239]
	v_fma_f64 v[8:9], v[166:167], s[12:13], v[6:7]
	v_fma_f64 v[6:7], v[166:167], s[12:13], -v[6:7]
	v_fma_f64 v[16:17], v[180:181], s[10:11], v[14:15]
	v_add_f64 v[12:13], v[12:13], v[234:235]
	s_delay_alu instid0(VALU_DEP_4) | instskip(NEXT) | instid1(VALU_DEP_4)
	v_add_f64 v[8:9], v[8:9], v[236:237]
	v_add_f64 v[4:5], v[6:7], v[4:5]
	v_fma_f64 v[6:7], v[164:165], s[18:19], v[10:11]
	v_fma_f64 v[10:11], v[180:181], s[10:11], -v[14:15]
	s_delay_alu instid0(VALU_DEP_4) | instskip(SKIP_1) | instid1(VALU_DEP_4)
	v_add_f64 v[8:9], v[16:17], v[8:9]
	v_mul_f64 v[16:17], v[192:193], s[10:11]
	v_add_f64 v[6:7], v[6:7], v[224:225]
	s_delay_alu instid0(VALU_DEP_4) | instskip(NEXT) | instid1(VALU_DEP_3)
	v_add_f64 v[4:5], v[10:11], v[4:5]
	v_fma_f64 v[18:19], v[168:169], s[20:21], v[16:17]
	v_fma_f64 v[10:11], v[168:169], s[34:35], v[16:17]
	v_mul_f64 v[16:17], v[204:205], s[24:25]
	s_delay_alu instid0(VALU_DEP_3) | instskip(SKIP_1) | instid1(VALU_DEP_4)
	v_add_f64 v[12:13], v[18:19], v[12:13]
	v_mul_f64 v[18:19], v[200:201], s[28:29]
	v_add_f64 v[6:7], v[10:11], v[6:7]
	s_delay_alu instid0(VALU_DEP_2) | instskip(SKIP_2) | instid1(VALU_DEP_3)
	v_fma_f64 v[20:21], v[196:197], s[14:15], v[18:19]
	v_fma_f64 v[10:11], v[196:197], s[14:15], -v[18:19]
	v_fma_f64 v[18:19], v[180:181], s[8:9], v[16:17]
	v_add_f64 v[8:9], v[20:21], v[8:9]
	v_mul_f64 v[20:21], v[170:171], s[14:15]
	s_delay_alu instid0(VALU_DEP_4) | instskip(NEXT) | instid1(VALU_DEP_2)
	v_add_f64 v[4:5], v[10:11], v[4:5]
	v_fma_f64 v[22:23], v[158:159], s[16:17], v[20:21]
	v_fma_f64 v[10:11], v[158:159], s[28:29], v[20:21]
	s_delay_alu instid0(VALU_DEP_2) | instskip(SKIP_1) | instid1(VALU_DEP_3)
	v_add_f64 v[12:13], v[22:23], v[12:13]
	v_mul_f64 v[22:23], v[162:163], s[22:23]
	v_add_f64 v[6:7], v[10:11], v[6:7]
	s_delay_alu instid0(VALU_DEP_2) | instskip(SKIP_1) | instid1(VALU_DEP_2)
	v_fma_f64 v[24:25], v[160:161], s[0:1], v[22:23]
	v_fma_f64 v[10:11], v[160:161], s[0:1], -v[22:23]
	v_add_f64 v[234:235], v[24:25], v[8:9]
	v_mul_f64 v[8:9], v[156:157], s[0:1]
	s_delay_alu instid0(VALU_DEP_3) | instskip(NEXT) | instid1(VALU_DEP_2)
	v_add_f64 v[4:5], v[10:11], v[4:5]
	v_fma_f64 v[24:25], v[152:153], s[26:27], v[8:9]
	v_fma_f64 v[8:9], v[152:153], s[22:23], v[8:9]
	s_delay_alu instid0(VALU_DEP_2) | instskip(NEXT) | instid1(VALU_DEP_2)
	v_add_f64 v[236:237], v[24:25], v[12:13]
	v_add_f64 v[6:7], v[8:9], v[6:7]
	v_mul_f64 v[8:9], v[206:207], s[34:35]
	v_mul_f64 v[12:13], v[198:199], s[10:11]
	s_delay_alu instid0(VALU_DEP_2) | instskip(NEXT) | instid1(VALU_DEP_2)
	v_fma_f64 v[10:11], v[166:167], s[10:11], v[8:9]
	v_fma_f64 v[14:15], v[164:165], s[20:21], v[12:13]
	v_fma_f64 v[8:9], v[166:167], s[10:11], -v[8:9]
	v_fma_f64 v[12:13], v[164:165], s[34:35], v[12:13]
	s_delay_alu instid0(VALU_DEP_4) | instskip(NEXT) | instid1(VALU_DEP_4)
	v_add_f64 v[10:11], v[10:11], v[222:223]
	v_add_f64 v[14:15], v[14:15], v[220:221]
	s_delay_alu instid0(VALU_DEP_4) | instskip(NEXT) | instid1(VALU_DEP_4)
	v_add_f64 v[8:9], v[8:9], v[218:219]
	v_add_f64 v[12:13], v[12:13], v[216:217]
	s_delay_alu instid0(VALU_DEP_4) | instskip(SKIP_1) | instid1(VALU_DEP_1)
	v_add_f64 v[10:11], v[18:19], v[10:11]
	v_mul_f64 v[18:19], v[192:193], s[8:9]
	v_fma_f64 v[20:21], v[168:169], s[30:31], v[18:19]
	s_delay_alu instid0(VALU_DEP_1) | instskip(SKIP_1) | instid1(VALU_DEP_1)
	v_add_f64 v[14:15], v[20:21], v[14:15]
	v_mul_f64 v[20:21], v[200:201], s[26:27]
	v_fma_f64 v[22:23], v[196:197], s[0:1], v[20:21]
	s_delay_alu instid0(VALU_DEP_1) | instskip(SKIP_1) | instid1(VALU_DEP_1)
	;; [unrolled: 4-line block ×4, first 2 shown]
	v_add_f64 v[220:221], v[26:27], v[10:11]
	v_mul_f64 v[10:11], v[156:157], s[12:13]
	v_fma_f64 v[26:27], v[152:153], s[36:37], v[10:11]
	v_fma_f64 v[10:11], v[152:153], s[18:19], v[10:11]
	s_delay_alu instid0(VALU_DEP_2) | instskip(SKIP_2) | instid1(VALU_DEP_2)
	v_add_f64 v[222:223], v[26:27], v[14:15]
	v_fma_f64 v[14:15], v[180:181], s[8:9], -v[16:17]
	v_mul_f64 v[16:17], v[204:205], s[26:27]
	v_add_f64 v[8:9], v[14:15], v[8:9]
	v_fma_f64 v[14:15], v[168:169], s[24:25], v[18:19]
	s_delay_alu instid0(VALU_DEP_3) | instskip(NEXT) | instid1(VALU_DEP_2)
	v_fma_f64 v[18:19], v[180:181], s[0:1], v[16:17]
	v_add_f64 v[12:13], v[14:15], v[12:13]
	v_fma_f64 v[14:15], v[196:197], s[0:1], -v[20:21]
	s_delay_alu instid0(VALU_DEP_1) | instskip(SKIP_1) | instid1(VALU_DEP_1)
	v_add_f64 v[8:9], v[14:15], v[8:9]
	v_fma_f64 v[14:15], v[158:159], s[26:27], v[22:23]
	v_add_f64 v[12:13], v[14:15], v[12:13]
	v_fma_f64 v[14:15], v[160:161], s[12:13], -v[24:25]
	s_delay_alu instid0(VALU_DEP_2) | instskip(NEXT) | instid1(VALU_DEP_2)
	v_add_f64 v[218:219], v[10:11], v[12:13]
	v_add_f64 v[216:217], v[14:15], v[8:9]
	v_mul_f64 v[8:9], v[206:207], s[28:29]
	v_mul_f64 v[12:13], v[198:199], s[14:15]
	s_delay_alu instid0(VALU_DEP_2) | instskip(NEXT) | instid1(VALU_DEP_2)
	v_fma_f64 v[10:11], v[166:167], s[14:15], v[8:9]
	v_fma_f64 v[14:15], v[164:165], s[16:17], v[12:13]
	v_fma_f64 v[8:9], v[166:167], s[14:15], -v[8:9]
	v_fma_f64 v[12:13], v[164:165], s[28:29], v[12:13]
	s_delay_alu instid0(VALU_DEP_4) | instskip(NEXT) | instid1(VALU_DEP_4)
	v_add_f64 v[10:11], v[10:11], v[210:211]
	v_add_f64 v[14:15], v[14:15], v[208:209]
	s_delay_alu instid0(VALU_DEP_4) | instskip(NEXT) | instid1(VALU_DEP_4)
	v_add_f64 v[8:9], v[8:9], v[194:195]
	v_add_f64 v[12:13], v[12:13], v[190:191]
	s_delay_alu instid0(VALU_DEP_4) | instskip(SKIP_1) | instid1(VALU_DEP_1)
	v_add_f64 v[10:11], v[18:19], v[10:11]
	v_mul_f64 v[18:19], v[192:193], s[0:1]
	v_fma_f64 v[20:21], v[168:169], s[22:23], v[18:19]
	s_delay_alu instid0(VALU_DEP_1) | instskip(SKIP_1) | instid1(VALU_DEP_1)
	v_add_f64 v[14:15], v[20:21], v[14:15]
	v_mul_f64 v[20:21], v[200:201], s[20:21]
	v_fma_f64 v[22:23], v[196:197], s[10:11], v[20:21]
	s_delay_alu instid0(VALU_DEP_1) | instskip(SKIP_1) | instid1(VALU_DEP_1)
	v_add_f64 v[10:11], v[22:23], v[10:11]
	v_mul_f64 v[22:23], v[170:171], s[10:11]
	v_fma_f64 v[24:25], v[158:159], s[34:35], v[22:23]
	s_delay_alu instid0(VALU_DEP_1) | instskip(SKIP_1) | instid1(VALU_DEP_1)
	v_add_f64 v[14:15], v[24:25], v[14:15]
	v_mul_f64 v[24:25], v[162:163], s[24:25]
	v_fma_f64 v[26:27], v[160:161], s[8:9], v[24:25]
	s_delay_alu instid0(VALU_DEP_1) | instskip(SKIP_2) | instid1(VALU_DEP_2)
	v_add_f64 v[208:209], v[26:27], v[10:11]
	v_mul_f64 v[10:11], v[156:157], s[8:9]
	v_mul_f64 v[156:157], v[156:157], s[14:15]
	v_fma_f64 v[26:27], v[152:153], s[30:31], v[10:11]
	v_fma_f64 v[10:11], v[152:153], s[24:25], v[10:11]
	s_delay_alu instid0(VALU_DEP_2) | instskip(SKIP_2) | instid1(VALU_DEP_2)
	v_add_f64 v[210:211], v[26:27], v[14:15]
	v_fma_f64 v[14:15], v[180:181], s[0:1], -v[16:17]
	v_mul_f64 v[16:17], v[198:199], s[0:1]
	v_add_f64 v[8:9], v[14:15], v[8:9]
	v_fma_f64 v[14:15], v[168:169], s[26:27], v[18:19]
	s_delay_alu instid0(VALU_DEP_3) | instskip(NEXT) | instid1(VALU_DEP_2)
	v_fma_f64 v[18:19], v[164:165], s[26:27], v[16:17]
	v_add_f64 v[12:13], v[14:15], v[12:13]
	v_fma_f64 v[14:15], v[196:197], s[10:11], -v[20:21]
	v_mul_f64 v[20:21], v[204:205], s[18:19]
	s_delay_alu instid0(VALU_DEP_4) | instskip(NEXT) | instid1(VALU_DEP_3)
	v_add_f64 v[18:19], v[18:19], v[186:187]
	v_add_f64 v[8:9], v[14:15], v[8:9]
	v_fma_f64 v[14:15], v[158:159], s[20:21], v[22:23]
	s_delay_alu instid0(VALU_DEP_4) | instskip(NEXT) | instid1(VALU_DEP_2)
	v_fma_f64 v[22:23], v[180:181], s[12:13], v[20:21]
	v_add_f64 v[12:13], v[14:15], v[12:13]
	v_fma_f64 v[14:15], v[160:161], s[8:9], -v[24:25]
	s_delay_alu instid0(VALU_DEP_2) | instskip(SKIP_1) | instid1(VALU_DEP_3)
	v_add_f64 v[10:11], v[10:11], v[12:13]
	v_mul_f64 v[12:13], v[206:207], s[22:23]
	v_add_f64 v[8:9], v[14:15], v[8:9]
	s_delay_alu instid0(VALU_DEP_2) | instskip(SKIP_1) | instid1(VALU_DEP_2)
	v_fma_f64 v[14:15], v[166:167], s[0:1], v[12:13]
	v_fma_f64 v[12:13], v[166:167], s[0:1], -v[12:13]
	v_add_f64 v[14:15], v[14:15], v[188:189]
	s_delay_alu instid0(VALU_DEP_2) | instskip(NEXT) | instid1(VALU_DEP_2)
	v_add_f64 v[12:13], v[12:13], v[182:183]
	v_add_f64 v[14:15], v[22:23], v[14:15]
	v_mul_f64 v[22:23], v[192:193], s[12:13]
	s_delay_alu instid0(VALU_DEP_1) | instskip(NEXT) | instid1(VALU_DEP_1)
	v_fma_f64 v[24:25], v[168:169], s[36:37], v[22:23]
	v_add_f64 v[18:19], v[24:25], v[18:19]
	v_mul_f64 v[24:25], v[200:201], s[24:25]
	s_delay_alu instid0(VALU_DEP_1) | instskip(NEXT) | instid1(VALU_DEP_1)
	v_fma_f64 v[26:27], v[196:197], s[8:9], v[24:25]
	v_add_f64 v[14:15], v[26:27], v[14:15]
	v_mul_f64 v[26:27], v[170:171], s[8:9]
	v_add_f64 v[170:171], v[128:129], v[132:133]
	s_delay_alu instid0(VALU_DEP_2) | instskip(NEXT) | instid1(VALU_DEP_1)
	v_fma_f64 v[58:59], v[158:159], s[30:31], v[26:27]
	v_add_f64 v[18:19], v[58:59], v[18:19]
	v_mul_f64 v[58:59], v[162:163], s[16:17]
	s_delay_alu instid0(VALU_DEP_1) | instskip(NEXT) | instid1(VALU_DEP_1)
	v_fma_f64 v[162:163], v[160:161], s[14:15], v[58:59]
	v_add_f64 v[186:187], v[162:163], v[14:15]
	v_fma_f64 v[14:15], v[152:153], s[28:29], v[156:157]
	s_delay_alu instid0(VALU_DEP_1)
	v_add_f64 v[188:189], v[14:15], v[18:19]
	v_fma_f64 v[14:15], v[164:165], s[22:23], v[16:17]
	v_fma_f64 v[16:17], v[180:181], s[12:13], -v[20:21]
	v_fma_f64 v[18:19], v[168:169], s[18:19], v[22:23]
	v_add_f64 v[20:21], v[144:145], -v[76:77]
	v_add_f64 v[22:23], v[144:145], v[76:77]
	v_add_f64 v[164:165], v[134:135], -v[86:87]
	v_add_f64 v[180:181], v[128:129], -v[132:133]
	v_add_f64 v[14:15], v[14:15], v[184:185]
	v_add_f64 v[12:13], v[16:17], v[12:13]
	v_fma_f64 v[16:17], v[196:197], s[8:9], -v[24:25]
	v_add_f64 v[24:25], v[140:141], v[82:83]
	v_mul_f64 v[166:167], v[20:21], s[16:17]
	v_mul_f64 v[168:169], v[22:23], s[14:15]
	;; [unrolled: 1-line block ×4, first 2 shown]
	v_add_f64 v[14:15], v[18:19], v[14:15]
	v_fma_f64 v[18:19], v[158:159], s[24:25], v[26:27]
	v_add_f64 v[12:13], v[16:17], v[12:13]
	v_fma_f64 v[16:17], v[160:161], s[14:15], -v[58:59]
	v_add_f64 v[26:27], v[140:141], -v[82:83]
	s_delay_alu instid0(VALU_DEP_4) | instskip(SKIP_1) | instid1(VALU_DEP_4)
	v_add_f64 v[14:15], v[18:19], v[14:15]
	v_fma_f64 v[18:19], v[152:153], s[16:17], v[156:157]
	v_add_f64 v[156:157], v[16:17], v[12:13]
	v_add_f64 v[12:13], v[242:243], v[138:139]
	;; [unrolled: 1-line block ×4, first 2 shown]
	v_mul_f64 v[242:243], v[22:23], s[8:9]
	v_add_f64 v[158:159], v[18:19], v[14:15]
	v_add_f64 v[14:15], v[244:245], v[142:143]
	;; [unrolled: 1-line block ×3, first 2 shown]
	v_add_f64 v[18:19], v[138:139], -v[78:79]
	v_add_f64 v[138:139], v[136:137], -v[80:81]
	s_delay_alu instid0(VALU_DEP_4) | instskip(NEXT) | instid1(VALU_DEP_4)
	v_add_f64 v[14:15], v[14:15], v[144:145]
	v_add_f64 v[12:13], v[12:13], v[134:135]
	v_add_f64 v[134:135], v[130:131], -v[84:85]
	s_delay_alu instid0(VALU_DEP_4)
	v_mul_f64 v[182:183], v[138:139], s[18:19]
	v_mul_f64 v[198:199], v[138:139], s[28:29]
	;; [unrolled: 1-line block ×4, first 2 shown]
	v_add_f64 v[14:15], v[14:15], v[136:137]
	v_add_f64 v[12:13], v[12:13], v[128:129]
	;; [unrolled: 1-line block ×3, first 2 shown]
	v_mul_f64 v[190:191], v[134:135], s[20:21]
	v_mul_f64 v[204:205], v[134:135], s[22:23]
	;; [unrolled: 1-line block ×3, first 2 shown]
	v_fma_f64 v[30:31], v[152:153], s[10:11], v[28:29]
	v_add_f64 v[14:15], v[14:15], v[130:131]
	v_add_f64 v[12:13], v[12:13], v[132:133]
	v_mul_f64 v[184:185], v[136:137], s[12:13]
	v_add_f64 v[130:131], v[130:131], v[84:85]
	v_mul_f64 v[200:201], v[136:137], s[14:15]
	v_mul_f64 v[32:33], v[136:137], s[10:11]
	v_fma_f64 v[38:39], v[170:171], s[8:9], v[36:37]
	v_add_f64 v[14:15], v[14:15], v[84:85]
	v_add_f64 v[12:13], v[12:13], v[86:87]
	v_mul_f64 v[192:193], v[130:131], s[10:11]
	v_mul_f64 v[206:207], v[130:131], s[0:1]
	v_fma_f64 v[34:35], v[164:165], s[34:35], v[32:33]
	v_add_f64 v[14:15], v[14:15], v[80:81]
	v_add_f64 v[12:13], v[12:13], v[82:83]
	s_delay_alu instid0(VALU_DEP_2) | instskip(NEXT) | instid1(VALU_DEP_2)
	v_add_f64 v[14:15], v[14:15], v[76:77]
	v_add_f64 v[12:13], v[12:13], v[78:79]
	v_fma_f64 v[78:79], v[24:25], s[10:11], v[194:195]
	s_delay_alu instid0(VALU_DEP_3) | instskip(NEXT) | instid1(VALU_DEP_3)
	v_add_f64 v[14:15], v[14:15], v[72:73]
	v_add_f64 v[160:161], v[12:13], v[74:75]
	v_add_f64 v[12:13], v[142:143], -v[72:73]
	v_fma_f64 v[74:75], v[24:25], s[14:15], v[166:167]
	s_delay_alu instid0(VALU_DEP_4) | instskip(SKIP_1) | instid1(VALU_DEP_4)
	v_add_f64 v[162:163], v[14:15], v[146:147]
	v_add_f64 v[14:15], v[142:143], v[72:73]
	v_mul_f64 v[144:145], v[12:13], s[30:31]
	v_mul_f64 v[140:141], v[12:13], s[18:19]
	;; [unrolled: 1-line block ×6, first 2 shown]
	v_fma_f64 v[58:59], v[16:17], s[8:9], v[144:145]
	v_mul_f64 v[142:143], v[14:15], s[12:13]
	s_delay_alu instid0(VALU_DEP_3) | instskip(NEXT) | instid1(VALU_DEP_3)
	v_fma_f64 v[72:73], v[18:19], s[24:25], v[146:147]
	v_add_f64 v[58:59], v[58:59], v[252:253]
	s_delay_alu instid0(VALU_DEP_3)
	v_fma_f64 v[76:77], v[18:19], s[36:37], v[142:143]
	v_mul_f64 v[252:253], v[22:23], s[0:1]
	v_mul_f64 v[22:23], v[22:23], s[12:13]
	v_add_f64 v[72:73], v[72:73], v[250:251]
	v_add_f64 v[58:59], v[74:75], v[58:59]
	v_fma_f64 v[74:75], v[26:27], s[28:29], v[168:169]
	v_add_f64 v[76:77], v[76:77], v[246:247]
	v_mul_f64 v[246:247], v[136:137], s[0:1]
	v_mul_f64 v[250:251], v[130:131], s[12:13]
	;; [unrolled: 1-line block ×3, first 2 shown]
	v_add_f64 v[72:73], v[74:75], v[72:73]
	v_fma_f64 v[74:75], v[152:153], s[12:13], v[182:183]
	s_delay_alu instid0(VALU_DEP_1) | instskip(SKIP_1) | instid1(VALU_DEP_1)
	v_add_f64 v[58:59], v[74:75], v[58:59]
	v_fma_f64 v[74:75], v[164:165], s[36:37], v[184:185]
	v_add_f64 v[74:75], v[74:75], v[72:73]
	v_fma_f64 v[72:73], v[170:171], s[10:11], v[190:191]
	s_delay_alu instid0(VALU_DEP_1) | instskip(SKIP_1) | instid1(VALU_DEP_1)
	v_add_f64 v[72:73], v[72:73], v[58:59]
	v_fma_f64 v[58:59], v[180:181], s[34:35], v[192:193]
	v_add_f64 v[74:75], v[58:59], v[74:75]
	v_fma_f64 v[58:59], v[16:17], s[12:13], v[140:141]
	s_delay_alu instid0(VALU_DEP_1) | instskip(SKIP_2) | instid1(VALU_DEP_3)
	v_add_f64 v[58:59], v[58:59], v[248:249]
	v_mul_f64 v[248:249], v[134:135], s[18:19]
	v_mul_f64 v[134:135], v[134:135], s[16:17]
	v_add_f64 v[58:59], v[78:79], v[58:59]
	v_fma_f64 v[78:79], v[26:27], s[20:21], v[196:197]
	s_delay_alu instid0(VALU_DEP_1) | instskip(SKIP_1) | instid1(VALU_DEP_1)
	v_add_f64 v[76:77], v[78:79], v[76:77]
	v_fma_f64 v[78:79], v[152:153], s[14:15], v[198:199]
	v_add_f64 v[58:59], v[78:79], v[58:59]
	v_fma_f64 v[78:79], v[164:165], s[16:17], v[200:201]
	s_delay_alu instid0(VALU_DEP_1) | instskip(SKIP_1) | instid1(VALU_DEP_1)
	v_add_f64 v[78:79], v[78:79], v[76:77]
	v_fma_f64 v[76:77], v[170:171], s[0:1], v[204:205]
	;; [unrolled: 5-line block ×3, first 2 shown]
	v_add_f64 v[58:59], v[58:59], v[240:241]
	v_mul_f64 v[240:241], v[14:15], s[10:11]
	s_delay_alu instid0(VALU_DEP_1) | instskip(NEXT) | instid1(VALU_DEP_1)
	v_fma_f64 v[80:81], v[18:19], s[20:21], v[240:241]
	v_add_f64 v[80:81], v[80:81], v[178:179]
	v_mul_f64 v[178:179], v[20:21], s[24:25]
	s_delay_alu instid0(VALU_DEP_1) | instskip(NEXT) | instid1(VALU_DEP_1)
	v_fma_f64 v[82:83], v[24:25], s[8:9], v[178:179]
	v_add_f64 v[58:59], v[82:83], v[58:59]
	v_fma_f64 v[82:83], v[26:27], s[30:31], v[242:243]
	s_delay_alu instid0(VALU_DEP_1) | instskip(SKIP_1) | instid1(VALU_DEP_1)
	v_add_f64 v[80:81], v[82:83], v[80:81]
	v_fma_f64 v[82:83], v[152:153], s[0:1], v[244:245]
	v_add_f64 v[58:59], v[82:83], v[58:59]
	v_fma_f64 v[82:83], v[164:165], s[22:23], v[246:247]
	s_delay_alu instid0(VALU_DEP_1) | instskip(SKIP_1) | instid1(VALU_DEP_1)
	v_add_f64 v[82:83], v[82:83], v[80:81]
	;; [unrolled: 5-line block ×3, first 2 shown]
	v_fma_f64 v[58:59], v[16:17], s[14:15], v[132:133]
	v_add_f64 v[58:59], v[58:59], v[176:177]
	v_mul_f64 v[176:177], v[14:15], s[14:15]
	v_mul_f64 v[14:15], v[14:15], s[0:1]
	s_delay_alu instid0(VALU_DEP_2) | instskip(NEXT) | instid1(VALU_DEP_1)
	v_fma_f64 v[84:85], v[18:19], s[16:17], v[176:177]
	v_add_f64 v[84:85], v[84:85], v[238:239]
	v_mul_f64 v[238:239], v[20:21], s[26:27]
	v_mul_f64 v[20:21], v[20:21], s[18:19]
	s_delay_alu instid0(VALU_DEP_2) | instskip(NEXT) | instid1(VALU_DEP_1)
	v_fma_f64 v[86:87], v[24:25], s[0:1], v[238:239]
	v_add_f64 v[58:59], v[86:87], v[58:59]
	v_fma_f64 v[86:87], v[26:27], s[22:23], v[252:253]
	s_delay_alu instid0(VALU_DEP_2) | instskip(NEXT) | instid1(VALU_DEP_2)
	v_add_f64 v[30:31], v[30:31], v[58:59]
	v_add_f64 v[84:85], v[86:87], v[84:85]
	v_fma_f64 v[58:59], v[24:25], s[12:13], v[20:21]
	v_fma_f64 v[20:21], v[24:25], s[12:13], -v[20:21]
	s_delay_alu instid0(VALU_DEP_3) | instskip(SKIP_2) | instid1(VALU_DEP_1)
	v_add_f64 v[34:35], v[34:35], v[84:85]
	v_add_f64 v[84:85], v[38:39], v[30:31]
	v_mul_f64 v[30:31], v[130:131], s[8:9]
	v_fma_f64 v[38:39], v[180:181], s[30:31], v[30:31]
	s_delay_alu instid0(VALU_DEP_1) | instskip(SKIP_4) | instid1(VALU_DEP_4)
	v_add_f64 v[86:87], v[38:39], v[34:35]
	v_fma_f64 v[34:35], v[16:17], s[0:1], v[12:13]
	v_fma_f64 v[38:39], v[18:19], s[26:27], v[14:15]
	v_fma_f64 v[12:13], v[16:17], s[0:1], -v[12:13]
	v_fma_f64 v[14:15], v[18:19], s[22:23], v[14:15]
	v_add_f64 v[34:35], v[34:35], v[232:233]
	s_delay_alu instid0(VALU_DEP_4) | instskip(NEXT) | instid1(VALU_DEP_4)
	v_add_f64 v[38:39], v[38:39], v[230:231]
	v_add_f64 v[12:13], v[12:13], v[228:229]
	s_delay_alu instid0(VALU_DEP_4) | instskip(NEXT) | instid1(VALU_DEP_4)
	v_add_f64 v[14:15], v[14:15], v[56:57]
	v_add_f64 v[34:35], v[58:59], v[34:35]
	v_fma_f64 v[58:59], v[26:27], s[36:37], v[22:23]
	s_delay_alu instid0(VALU_DEP_4) | instskip(SKIP_1) | instid1(VALU_DEP_3)
	v_add_f64 v[12:13], v[20:21], v[12:13]
	v_fma_f64 v[20:21], v[26:27], s[18:19], v[22:23]
	v_add_f64 v[38:39], v[58:59], v[38:39]
	v_mul_f64 v[58:59], v[138:139], s[24:25]
	s_delay_alu instid0(VALU_DEP_3) | instskip(SKIP_1) | instid1(VALU_DEP_3)
	v_add_f64 v[14:15], v[20:21], v[14:15]
	v_mul_f64 v[138:139], v[130:131], s[14:15]
	v_fma_f64 v[20:21], v[152:153], s[8:9], -v[58:59]
	v_fma_f64 v[128:129], v[152:153], s[8:9], v[58:59]
	s_delay_alu instid0(VALU_DEP_3) | instskip(NEXT) | instid1(VALU_DEP_3)
	v_fma_f64 v[22:23], v[180:181], s[16:17], v[138:139]
	v_add_f64 v[12:13], v[20:21], v[12:13]
	v_fma_f64 v[20:21], v[164:165], s[24:25], v[136:137]
	s_delay_alu instid0(VALU_DEP_4) | instskip(SKIP_1) | instid1(VALU_DEP_3)
	v_add_f64 v[34:35], v[128:129], v[34:35]
	v_fma_f64 v[128:129], v[164:165], s[30:31], v[136:137]
	v_add_f64 v[14:15], v[20:21], v[14:15]
	v_fma_f64 v[20:21], v[170:171], s[14:15], -v[134:135]
	s_delay_alu instid0(VALU_DEP_3) | instskip(SKIP_1) | instid1(VALU_DEP_4)
	v_add_f64 v[38:39], v[128:129], v[38:39]
	v_fma_f64 v[128:129], v[170:171], s[14:15], v[134:135]
	v_add_f64 v[58:59], v[22:23], v[14:15]
	s_delay_alu instid0(VALU_DEP_4)
	v_add_f64 v[56:57], v[20:21], v[12:13]
	v_fma_f64 v[12:13], v[16:17], s[14:15], -v[132:133]
	v_fma_f64 v[14:15], v[18:19], s[28:29], v[176:177]
	v_fma_f64 v[20:21], v[24:25], s[0:1], -v[238:239]
	v_fma_f64 v[22:23], v[180:181], s[24:25], v[30:31]
	v_add_f64 v[128:129], v[128:129], v[34:35]
	v_fma_f64 v[34:35], v[180:181], s[28:29], v[138:139]
	v_add_f64 v[12:13], v[12:13], v[214:215]
	v_add_f64 v[14:15], v[14:15], v[212:213]
	s_delay_alu instid0(VALU_DEP_3) | instskip(NEXT) | instid1(VALU_DEP_3)
	v_add_f64 v[130:131], v[34:35], v[38:39]
	v_add_f64 v[12:13], v[20:21], v[12:13]
	v_fma_f64 v[20:21], v[26:27], s[26:27], v[252:253]
	s_delay_alu instid0(VALU_DEP_1) | instskip(SKIP_1) | instid1(VALU_DEP_1)
	v_add_f64 v[14:15], v[20:21], v[14:15]
	v_fma_f64 v[20:21], v[152:153], s[10:11], -v[28:29]
	v_add_f64 v[12:13], v[20:21], v[12:13]
	v_fma_f64 v[20:21], v[164:165], s[20:21], v[32:33]
	s_delay_alu instid0(VALU_DEP_1) | instskip(SKIP_1) | instid1(VALU_DEP_2)
	v_add_f64 v[14:15], v[20:21], v[14:15]
	v_fma_f64 v[20:21], v[170:171], s[8:9], -v[36:37]
	v_add_f64 v[134:135], v[22:23], v[14:15]
	s_delay_alu instid0(VALU_DEP_2) | instskip(SKIP_4) | instid1(VALU_DEP_4)
	v_add_f64 v[132:133], v[20:21], v[12:13]
	v_fma_f64 v[12:13], v[16:17], s[10:11], -v[224:225]
	v_fma_f64 v[14:15], v[18:19], s[34:35], v[240:241]
	v_fma_f64 v[20:21], v[24:25], s[8:9], -v[178:179]
	v_fma_f64 v[22:23], v[180:181], s[18:19], v[250:251]
	v_add_f64 v[12:13], v[12:13], v[202:203]
	s_delay_alu instid0(VALU_DEP_4) | instskip(NEXT) | instid1(VALU_DEP_2)
	v_add_f64 v[14:15], v[14:15], v[174:175]
	v_add_f64 v[12:13], v[20:21], v[12:13]
	v_fma_f64 v[20:21], v[26:27], s[24:25], v[242:243]
	s_delay_alu instid0(VALU_DEP_1) | instskip(SKIP_1) | instid1(VALU_DEP_1)
	v_add_f64 v[14:15], v[20:21], v[14:15]
	v_fma_f64 v[20:21], v[152:153], s[0:1], -v[244:245]
	v_add_f64 v[12:13], v[20:21], v[12:13]
	v_fma_f64 v[20:21], v[164:165], s[26:27], v[246:247]
	s_delay_alu instid0(VALU_DEP_1) | instskip(SKIP_1) | instid1(VALU_DEP_2)
	v_add_f64 v[14:15], v[20:21], v[14:15]
	v_fma_f64 v[20:21], v[170:171], s[12:13], -v[248:249]
	v_add_f64 v[138:139], v[22:23], v[14:15]
	s_delay_alu instid0(VALU_DEP_2) | instskip(SKIP_4) | instid1(VALU_DEP_4)
	v_add_f64 v[136:137], v[20:21], v[12:13]
	v_fma_f64 v[12:13], v[16:17], s[12:13], -v[140:141]
	v_fma_f64 v[14:15], v[18:19], s[18:19], v[142:143]
	v_fma_f64 v[20:21], v[24:25], s[10:11], -v[194:195]
	v_fma_f64 v[22:23], v[180:181], s[22:23], v[206:207]
	v_add_f64 v[12:13], v[12:13], v[172:173]
	s_delay_alu instid0(VALU_DEP_4) | instskip(NEXT) | instid1(VALU_DEP_2)
	v_add_f64 v[14:15], v[14:15], v[154:155]
	v_add_f64 v[12:13], v[20:21], v[12:13]
	v_fma_f64 v[20:21], v[26:27], s[34:35], v[196:197]
	s_delay_alu instid0(VALU_DEP_1) | instskip(SKIP_1) | instid1(VALU_DEP_1)
	v_add_f64 v[14:15], v[20:21], v[14:15]
	v_fma_f64 v[20:21], v[152:153], s[14:15], -v[198:199]
	v_add_f64 v[12:13], v[20:21], v[12:13]
	v_fma_f64 v[20:21], v[164:165], s[28:29], v[200:201]
	s_delay_alu instid0(VALU_DEP_1) | instskip(SKIP_1) | instid1(VALU_DEP_2)
	v_add_f64 v[14:15], v[20:21], v[14:15]
	v_fma_f64 v[20:21], v[170:171], s[0:1], -v[204:205]
	v_add_f64 v[142:143], v[22:23], v[14:15]
	s_delay_alu instid0(VALU_DEP_2) | instskip(SKIP_4) | instid1(VALU_DEP_4)
	v_add_f64 v[140:141], v[20:21], v[12:13]
	v_fma_f64 v[12:13], v[16:17], s[8:9], -v[144:145]
	v_fma_f64 v[16:17], v[24:25], s[14:15], -v[166:167]
	v_fma_f64 v[14:15], v[18:19], s[30:31], v[146:147]
	v_fma_f64 v[18:19], v[26:27], s[16:17], v[168:169]
	v_add_f64 v[12:13], v[12:13], v[148:149]
	s_delay_alu instid0(VALU_DEP_3) | instskip(NEXT) | instid1(VALU_DEP_2)
	v_add_f64 v[14:15], v[14:15], v[150:151]
	v_add_f64 v[12:13], v[16:17], v[12:13]
	v_fma_f64 v[16:17], v[152:153], s[12:13], -v[182:183]
	s_delay_alu instid0(VALU_DEP_3) | instskip(SKIP_1) | instid1(VALU_DEP_3)
	v_add_f64 v[14:15], v[18:19], v[14:15]
	v_fma_f64 v[18:19], v[164:165], s[18:19], v[184:185]
	v_add_f64 v[12:13], v[16:17], v[12:13]
	v_fma_f64 v[16:17], v[170:171], s[10:11], -v[190:191]
	s_delay_alu instid0(VALU_DEP_3) | instskip(SKIP_1) | instid1(VALU_DEP_3)
	v_add_f64 v[14:15], v[18:19], v[14:15]
	v_fma_f64 v[18:19], v[180:181], s[20:21], v[192:193]
	v_add_f64 v[144:145], v[16:17], v[12:13]
	scratch_load_b32 v12, off, off offset:2116 ; 4-byte Folded Reload
	v_add_f64 v[146:147], v[18:19], v[14:15]
	s_waitcnt vmcnt(0)
	ds_store_b128 v12, v[116:119]
	ds_store_b128 v12, v[0:3] offset:112
	ds_store_b128 v12, v[92:95] offset:224
	;; [unrolled: 1-line block ×10, first 2 shown]
	ds_store_b128 v227, v[124:127]
	ds_store_b128 v227, v[68:71] offset:112
	ds_store_b128 v227, v[234:237] offset:224
	;; [unrolled: 1-line block ×10, first 2 shown]
	scratch_load_b32 v0, off, off offset:2120 ; 4-byte Folded Reload
	s_waitcnt vmcnt(0)
	ds_store_b128 v0, v[160:163]
	ds_store_b128 v0, v[72:75] offset:112
	ds_store_b128 v0, v[76:79] offset:224
	;; [unrolled: 1-line block ×10, first 2 shown]
	s_and_saveexec_b32 s33, vcc_lo
	s_cbranch_execz .LBB0_9
; %bb.8:
	scratch_load_b128 v[14:17], off, off offset:2252 ; 16-byte Folded Reload
	s_waitcnt vmcnt(0)
	v_mul_f64 v[0:1], v[16:17], v[52:53]
	v_mul_f64 v[2:3], v[16:17], v[54:55]
	s_clause 0xf
	scratch_load_b128 v[16:19], off, off offset:2268
	scratch_load_b128 v[20:23], off, off offset:132
	;; [unrolled: 1-line block ×16, first 2 shown]
	v_fma_f64 v[12:13], v[14:15], v[54:55], -v[0:1]
	v_fma_f64 v[14:15], v[14:15], v[52:53], v[2:3]
	s_waitcnt vmcnt(14)
	v_mul_f64 v[6:7], v[18:19], v[20:21]
	v_mul_f64 v[4:5], v[18:19], v[22:23]
	s_waitcnt vmcnt(12)
	v_mul_f64 v[8:9], v[34:35], v[58:59]
	s_waitcnt vmcnt(10)
	;; [unrolled: 2-line block ×3, first 2 shown]
	v_mul_f64 v[24:25], v[76:77], v[104:105]
	v_mul_f64 v[18:19], v[68:69], v[72:73]
	s_waitcnt vmcnt(4)
	v_mul_f64 v[26:27], v[80:81], v[98:99]
	s_waitcnt vmcnt(2)
	v_mul_f64 v[28:29], v[86:87], v[102:103]
	v_mul_f64 v[30:31], v[80:81], v[96:97]
	v_fma_f64 v[2:3], v[16:17], v[22:23], -v[6:7]
	v_mul_f64 v[22:23], v[76:77], v[106:107]
	v_fma_f64 v[0:1], v[16:17], v[20:21], v[4:5]
	v_mul_f64 v[4:5], v[34:35], v[56:57]
	v_fma_f64 v[24:25], v[74:75], v[106:107], -v[24:25]
	s_clause 0x1
	scratch_load_b128 v[106:109], off, off offset:2156
	scratch_load_b128 v[110:113], off, off offset:36
	v_mul_f64 v[6:7], v[38:39], v[60:61]
	v_fma_f64 v[8:9], v[32:33], v[56:57], v[8:9]
	v_fma_f64 v[52:53], v[36:37], v[60:61], v[10:11]
	v_mul_f64 v[20:21], v[68:69], v[70:71]
	v_mul_f64 v[34:35], v[86:87], v[100:101]
	s_waitcnt vmcnt(2)
	v_mul_f64 v[38:39], v[90:91], v[92:93]
	v_fma_f64 v[18:19], v[66:67], v[70:71], v[18:19]
	v_fma_f64 v[26:27], v[78:79], v[96:97], v[26:27]
	v_fma_f64 v[28:29], v[84:85], v[100:101], v[28:29]
	v_fma_f64 v[30:31], v[78:79], v[98:99], -v[30:31]
	v_add_f64 v[16:17], v[12:13], -v[2:3]
	v_add_f64 v[54:55], v[12:13], v[2:3]
	v_add_f64 v[10:11], v[14:15], -v[0:1]
	v_fma_f64 v[4:5], v[32:33], v[58:59], -v[4:5]
	v_add_f64 v[56:57], v[14:15], v[0:1]
	v_fma_f64 v[22:23], v[74:75], v[104:105], v[22:23]
	v_fma_f64 v[6:7], v[36:37], v[62:63], -v[6:7]
	v_mul_f64 v[36:37], v[90:91], v[94:95]
	v_add_f64 v[32:33], v[8:9], -v[52:53]
	v_fma_f64 v[20:21], v[66:67], v[72:73], -v[20:21]
	v_add_f64 v[12:13], v[50:51], v[12:13]
	v_add_f64 v[14:15], v[48:49], v[14:15]
	v_fma_f64 v[34:35], v[84:85], v[102:103], -v[34:35]
	v_fma_f64 v[38:39], v[88:89], v[94:95], -v[38:39]
	v_mul_f64 v[60:61], v[16:17], s[20:21]
	v_mul_f64 v[64:65], v[16:17], s[18:19]
	;; [unrolled: 1-line block ×10, first 2 shown]
	v_add_f64 v[78:79], v[4:5], -v[6:7]
	v_add_f64 v[80:81], v[4:5], v[6:7]
	v_mul_f64 v[82:83], v[32:33], s[22:23]
	v_mul_f64 v[84:85], v[32:33], s[28:29]
	v_fma_f64 v[36:37], v[88:89], v[92:93], v[36:37]
	v_mul_f64 v[86:87], v[32:33], s[34:35]
	v_add_f64 v[4:5], v[12:13], v[4:5]
	v_add_f64 v[170:171], v[30:31], v[34:35]
	v_fma_f64 v[90:91], v[56:57], s[10:11], -v[60:61]
	v_fma_f64 v[60:61], v[56:57], s[10:11], v[60:61]
	v_fma_f64 v[88:89], v[54:55], s[10:11], v[58:59]
	v_fma_f64 v[58:59], v[54:55], s[10:11], -v[58:59]
	v_fma_f64 v[92:93], v[54:55], s[12:13], v[62:63]
	v_fma_f64 v[94:95], v[56:57], s[12:13], -v[64:65]
	v_fma_f64 v[62:63], v[54:55], s[12:13], -v[62:63]
	v_fma_f64 v[64:65], v[56:57], s[12:13], v[64:65]
	v_fma_f64 v[96:97], v[54:55], s[14:15], v[66:67]
	v_fma_f64 v[66:67], v[54:55], s[14:15], -v[66:67]
	v_fma_f64 v[98:99], v[54:55], s[8:9], -v[68:69]
	v_fma_f64 v[100:101], v[56:57], s[8:9], v[70:71]
	v_fma_f64 v[102:103], v[56:57], s[14:15], v[72:73]
	v_fma_f64 v[72:73], v[56:57], s[14:15], -v[72:73]
	v_fma_f64 v[68:69], v[54:55], s[8:9], v[68:69]
	v_fma_f64 v[70:71], v[56:57], s[8:9], -v[70:71]
	;; [unrolled: 2-line block ×4, first 2 shown]
	v_mul_f64 v[56:57], v[32:33], s[18:19]
	v_mul_f64 v[32:33], v[32:33], s[30:31]
	v_mul_f64 v[12:13], v[78:79], s[22:23]
	v_mul_f64 v[114:115], v[78:79], s[18:19]
	v_add_f64 v[4:5], v[4:5], v[38:39]
	v_add_f64 v[90:91], v[48:49], v[90:91]
	;; [unrolled: 1-line block ×21, first 2 shown]
	v_fma_f64 v[48:49], v[80:81], s[12:13], v[56:57]
	v_fma_f64 v[54:55], v[80:81], s[12:13], -v[56:57]
	v_fma_f64 v[56:57], v[80:81], s[8:9], v[32:33]
	v_fma_f64 v[32:33], v[80:81], s[8:9], -v[32:33]
	v_add_f64 v[4:5], v[4:5], v[30:31]
	v_add_f64 v[48:49], v[48:49], v[68:69]
	;; [unrolled: 1-line block ×6, first 2 shown]
	s_delay_alu instid0(VALU_DEP_1) | instskip(NEXT) | instid1(VALU_DEP_1)
	v_add_f64 v[4:5], v[4:5], v[24:25]
	v_add_f64 v[4:5], v[4:5], v[34:35]
	s_waitcnt vmcnt(0)
	v_mul_f64 v[74:75], v[108:109], v[112:113]
	v_mul_f64 v[76:77], v[108:109], v[110:111]
	v_fma_f64 v[108:109], v[80:81], s[0:1], v[82:83]
	v_fma_f64 v[82:83], v[80:81], s[0:1], -v[82:83]
	s_delay_alu instid0(VALU_DEP_4) | instskip(NEXT) | instid1(VALU_DEP_4)
	v_fma_f64 v[74:75], v[106:107], v[110:111], v[74:75]
	v_fma_f64 v[76:77], v[106:107], v[112:113], -v[76:77]
	v_add_f64 v[106:107], v[8:9], v[52:53]
	v_add_f64 v[8:9], v[14:15], v[8:9]
	v_mul_f64 v[14:15], v[78:79], s[28:29]
	v_fma_f64 v[110:111], v[80:81], s[14:15], v[84:85]
	v_fma_f64 v[84:85], v[80:81], s[14:15], -v[84:85]
	v_fma_f64 v[112:113], v[80:81], s[10:11], v[86:87]
	v_fma_f64 v[86:87], v[80:81], s[10:11], -v[86:87]
	v_mul_f64 v[80:81], v[78:79], s[34:35]
	v_mul_f64 v[78:79], v[78:79], s[30:31]
	v_add_f64 v[58:59], v[82:83], v[58:59]
	v_add_f64 v[134:135], v[38:39], v[76:77]
	v_fma_f64 v[116:117], v[106:107], s[0:1], -v[12:13]
	v_fma_f64 v[12:13], v[106:107], s[0:1], v[12:13]
	v_fma_f64 v[118:119], v[106:107], s[14:15], -v[14:15]
	v_fma_f64 v[14:15], v[106:107], s[14:15], v[14:15]
	v_fma_f64 v[122:123], v[106:107], s[12:13], -v[114:115]
	v_fma_f64 v[114:115], v[106:107], s[12:13], v[114:115]
	v_add_f64 v[38:39], v[38:39], -v[76:77]
	v_fma_f64 v[120:121], v[106:107], s[10:11], -v[80:81]
	v_fma_f64 v[80:81], v[106:107], s[10:11], v[80:81]
	v_fma_f64 v[124:125], v[106:107], s[8:9], -v[78:79]
	v_fma_f64 v[78:79], v[106:107], s[8:9], v[78:79]
	v_add_f64 v[106:107], v[36:37], -v[74:75]
	v_add_f64 v[8:9], v[8:9], v[36:37]
	v_add_f64 v[36:37], v[36:37], v[74:75]
	v_add_f64 v[62:63], v[84:85], v[62:63]
	v_add_f64 v[66:67], v[86:87], v[66:67]
	v_add_f64 v[4:5], v[4:5], v[76:77]
	v_add_f64 v[12:13], v[12:13], v[60:61]
	v_add_f64 v[60:61], v[110:111], v[92:93]
	v_add_f64 v[82:83], v[118:119], v[94:95]
	v_add_f64 v[14:15], v[14:15], v[64:65]
	v_add_f64 v[64:65], v[112:113], v[96:97]
	v_mul_f64 v[146:147], v[38:39], s[26:27]
	v_mul_f64 v[148:149], v[38:39], s[24:25]
	;; [unrolled: 1-line block ×3, first 2 shown]
	v_add_f64 v[84:85], v[114:115], v[100:101]
	v_add_f64 v[32:33], v[78:79], v[50:51]
	v_mul_f64 v[126:127], v[106:107], s[18:19]
	v_mul_f64 v[128:129], v[106:107], s[26:27]
	;; [unrolled: 1-line block ×5, first 2 shown]
	v_add_f64 v[8:9], v[8:9], v[26:27]
	v_add_f64 v[80:81], v[80:81], v[102:103]
	;; [unrolled: 1-line block ×5, first 2 shown]
	v_fma_f64 v[154:155], v[36:37], s[0:1], -v[146:147]
	v_fma_f64 v[146:147], v[36:37], s[0:1], v[146:147]
	v_fma_f64 v[156:157], v[36:37], s[8:9], -v[148:149]
	v_fma_f64 v[148:149], v[36:37], s[8:9], v[148:149]
	;; [unrolled: 2-line block ×7, first 2 shown]
	v_fma_f64 v[106:107], v[134:135], s[14:15], -v[106:107]
	v_mul_f64 v[134:135], v[38:39], s[18:19]
	v_mul_f64 v[38:39], v[38:39], s[16:17]
	v_fma_f64 v[150:151], v[36:37], s[10:11], v[150:151]
	v_add_f64 v[8:9], v[8:9], v[18:19]
	v_add_f64 v[14:15], v[146:147], v[14:15]
	;; [unrolled: 1-line block ×12, first 2 shown]
	v_fma_f64 v[152:153], v[36:37], s[12:13], -v[134:135]
	v_fma_f64 v[134:135], v[36:37], s[12:13], v[134:135]
	v_fma_f64 v[160:161], v[36:37], s[14:15], -v[38:39]
	v_fma_f64 v[36:37], v[36:37], s[14:15], v[38:39]
	v_add_f64 v[38:39], v[26:27], -v[28:29]
	v_add_f64 v[8:9], v[8:9], v[22:23]
	v_add_f64 v[26:27], v[26:27], v[28:29]
	;; [unrolled: 1-line block ×5, first 2 shown]
	v_mul_f64 v[162:163], v[38:39], s[24:25]
	v_mul_f64 v[164:165], v[38:39], s[20:21]
	;; [unrolled: 1-line block ×5, first 2 shown]
	v_add_f64 v[8:9], v[8:9], v[28:29]
	v_fma_f64 v[172:173], v[170:171], s[8:9], v[162:163]
	v_fma_f64 v[162:163], v[170:171], s[8:9], -v[162:163]
	v_fma_f64 v[174:175], v[170:171], s[10:11], v[164:165]
	v_fma_f64 v[164:165], v[170:171], s[10:11], -v[164:165]
	;; [unrolled: 2-line block ×5, first 2 shown]
	v_add_f64 v[170:171], v[20:21], -v[24:25]
	v_add_f64 v[20:21], v[20:21], v[24:25]
	v_add_f64 v[24:25], v[18:19], -v[22:23]
	v_add_f64 v[18:19], v[18:19], v[22:23]
	;; [unrolled: 2-line block ×3, first 2 shown]
	v_add_f64 v[38:39], v[38:39], v[10:11]
	v_mul_f64 v[36:37], v[170:171], s[16:17]
	v_mul_f64 v[74:75], v[170:171], s[24:25]
	;; [unrolled: 1-line block ×5, first 2 shown]
	v_add_f64 v[110:111], v[8:9], v[52:53]
	v_mul_f64 v[182:183], v[22:23], s[20:21]
	v_mul_f64 v[184:185], v[22:23], s[26:27]
	;; [unrolled: 1-line block ×8, first 2 shown]
	v_fma_f64 v[98:99], v[18:19], s[14:15], -v[36:37]
	v_fma_f64 v[36:37], v[18:19], s[14:15], v[36:37]
	v_fma_f64 v[92:93], v[20:21], s[12:13], -v[50:51]
	v_fma_f64 v[78:79], v[20:21], s[14:15], v[28:29]
	;; [unrolled: 2-line block ×7, first 2 shown]
	v_add_f64 v[26:27], v[108:109], v[88:89]
	v_add_f64 v[88:89], v[116:117], v[90:91]
	v_fma_f64 v[90:91], v[20:21], s[12:13], v[50:51]
	v_add_f64 v[50:51], v[126:127], v[58:59]
	v_add_f64 v[58:59], v[138:139], v[60:61]
	;; [unrolled: 1-line block ×4, first 2 shown]
	v_mul_f64 v[84:85], v[170:171], s[22:23]
	v_fma_f64 v[28:29], v[20:21], s[14:15], -v[28:29]
	v_fma_f64 v[86:87], v[20:21], s[8:9], v[34:35]
	v_fma_f64 v[34:35], v[20:21], s[8:9], -v[34:35]
	v_fma_f64 v[94:95], v[20:21], s[0:1], v[70:71]
	;; [unrolled: 2-line block ×3, first 2 shown]
	v_fma_f64 v[20:21], v[20:21], s[10:11], -v[24:25]
	v_fma_f64 v[100:101], v[18:19], s[8:9], -v[74:75]
	;; [unrolled: 1-line block ×3, first 2 shown]
	v_fma_f64 v[76:77], v[18:19], s[12:13], v[76:77]
	v_fma_f64 v[74:75], v[18:19], s[8:9], v[74:75]
	v_add_f64 v[108:109], v[180:181], v[56:57]
	v_add_f64 v[0:1], v[110:111], v[0:1]
	;; [unrolled: 1-line block ×11, first 2 shown]
	v_mul_f64 v[88:89], v[170:171], s[20:21]
	v_add_f64 v[50:51], v[162:163], v[50:51]
	v_add_f64 v[30:31], v[174:175], v[58:59]
	;; [unrolled: 1-line block ×4, first 2 shown]
	v_fma_f64 v[104:105], v[18:19], s[0:1], -v[84:85]
	v_fma_f64 v[84:85], v[18:19], s[0:1], v[84:85]
	v_add_f64 v[62:63], v[176:177], v[64:65]
	v_add_f64 v[64:65], v[166:167], v[66:67]
	v_add_f64 v[66:67], v[168:169], v[54:55]
	v_add_f64 v[82:83], v[186:187], v[82:83]
	v_add_f64 v[32:33], v[4:5], v[6:7]
	v_add_f64 v[8:9], v[36:37], v[12:13]
	s_clause 0x1
	scratch_load_b32 v12, off, off offset:784
	scratch_load_b32 v13, off, off offset:780
	v_add_f64 v[52:53], v[74:75], v[14:15]
	v_add_f64 v[56:57], v[102:103], v[72:73]
	;; [unrolled: 1-line block ×5, first 2 shown]
	v_fma_f64 v[106:107], v[18:19], s[10:11], -v[88:89]
	v_fma_f64 v[18:19], v[18:19], s[10:11], v[88:89]
	v_add_f64 v[88:89], v[178:179], v[48:49]
	v_add_f64 v[48:49], v[100:101], v[58:59]
	;; [unrolled: 1-line block ×18, first 2 shown]
	s_waitcnt vmcnt(1)
	v_mul_u32_u24_e32 v12, 0x4d, v12
	s_waitcnt vmcnt(0)
	s_delay_alu instid0(VALU_DEP_1)
	v_add_lshl_u32 v12, v12, v13, 4
	ds_store_b128 v12, v[64:67] offset:224
	ds_store_b128 v12, v[60:63] offset:336
	;; [unrolled: 1-line block ×9, first 2 shown]
	ds_store_b128 v12, v[0:3]
	ds_store_b128 v12, v[72:75] offset:1120
.LBB0_9:
	s_or_b32 exec_lo, exec_lo, s33
	s_waitcnt lgkmcnt(0)
	s_barrier
	buffer_gl0_inv
	s_clause 0x3
	scratch_load_b128 v[6:9], off, off offset:164
	scratch_load_b128 v[10:13], off, off offset:148
	;; [unrolled: 1-line block ×4, first 2 shown]
	ds_load_b128 v[0:3], v226 offset:6160
	s_clause 0x4
	scratch_load_b128 v[22:25], off, off offset:868
	scratch_load_b128 v[26:29], off, off offset:852
	;; [unrolled: 1-line block ×5, first 2 shown]
	s_mov_b32 s10, 0x134454ff
	s_mov_b32 s11, 0xbfee6f0e
	;; [unrolled: 1-line block ×10, first 2 shown]
	s_waitcnt vmcnt(8) lgkmcnt(0)
	v_mul_f64 v[4:5], v[8:9], v[2:3]
	s_delay_alu instid0(VALU_DEP_1) | instskip(SKIP_1) | instid1(VALU_DEP_1)
	v_fma_f64 v[4:5], v[6:7], v[0:1], v[4:5]
	v_mul_f64 v[0:1], v[8:9], v[0:1]
	v_fma_f64 v[6:7], v[6:7], v[2:3], -v[0:1]
	ds_load_b128 v[0:3], v226 offset:12320
	s_waitcnt vmcnt(7) lgkmcnt(0)
	v_mul_f64 v[8:9], v[12:13], v[2:3]
	s_delay_alu instid0(VALU_DEP_1) | instskip(SKIP_1) | instid1(VALU_DEP_1)
	v_fma_f64 v[8:9], v[10:11], v[0:1], v[8:9]
	v_mul_f64 v[0:1], v[12:13], v[0:1]
	v_fma_f64 v[10:11], v[10:11], v[2:3], -v[0:1]
	ds_load_b128 v[0:3], v226 offset:18480
	s_waitcnt vmcnt(6) lgkmcnt(0)
	v_mul_f64 v[12:13], v[16:17], v[2:3]
	s_delay_alu instid0(VALU_DEP_1) | instskip(SKIP_1) | instid1(VALU_DEP_2)
	v_fma_f64 v[12:13], v[14:15], v[0:1], v[12:13]
	v_mul_f64 v[0:1], v[16:17], v[0:1]
	v_add_f64 v[66:67], v[8:9], -v[12:13]
	s_delay_alu instid0(VALU_DEP_2) | instskip(SKIP_4) | instid1(VALU_DEP_2)
	v_fma_f64 v[14:15], v[14:15], v[2:3], -v[0:1]
	ds_load_b128 v[0:3], v226 offset:24640
	s_waitcnt vmcnt(5) lgkmcnt(0)
	v_mul_f64 v[16:17], v[20:21], v[2:3]
	v_add_f64 v[54:55], v[10:11], -v[14:15]
	v_fma_f64 v[16:17], v[18:19], v[0:1], v[16:17]
	v_mul_f64 v[0:1], v[20:21], v[0:1]
	s_delay_alu instid0(VALU_DEP_2) | instskip(NEXT) | instid1(VALU_DEP_2)
	v_add_f64 v[64:65], v[4:5], -v[16:17]
	v_fma_f64 v[18:19], v[18:19], v[2:3], -v[0:1]
	ds_load_b128 v[0:3], v226 offset:7040
	s_waitcnt vmcnt(4) lgkmcnt(0)
	v_mul_f64 v[20:21], v[24:25], v[2:3]
	v_add_f64 v[52:53], v[6:7], -v[18:19]
	s_delay_alu instid0(VALU_DEP_2) | instskip(SKIP_1) | instid1(VALU_DEP_1)
	v_fma_f64 v[20:21], v[22:23], v[0:1], v[20:21]
	v_mul_f64 v[0:1], v[24:25], v[0:1]
	v_fma_f64 v[22:23], v[22:23], v[2:3], -v[0:1]
	ds_load_b128 v[0:3], v226 offset:13200
	s_waitcnt vmcnt(3) lgkmcnt(0)
	v_mul_f64 v[24:25], v[28:29], v[2:3]
	s_delay_alu instid0(VALU_DEP_1) | instskip(SKIP_1) | instid1(VALU_DEP_1)
	v_fma_f64 v[24:25], v[26:27], v[0:1], v[24:25]
	v_mul_f64 v[0:1], v[28:29], v[0:1]
	v_fma_f64 v[26:27], v[26:27], v[2:3], -v[0:1]
	ds_load_b128 v[0:3], v226 offset:19360
	s_waitcnt vmcnt(1) lgkmcnt(0)
	v_mul_f64 v[28:29], v[32:33], v[2:3]
	s_delay_alu instid0(VALU_DEP_1) | instskip(SKIP_1) | instid1(VALU_DEP_1)
	;; [unrolled: 7-line block ×3, first 2 shown]
	v_fma_f64 v[32:33], v[34:35], v[0:1], v[32:33]
	v_mul_f64 v[0:1], v[36:37], v[0:1]
	v_fma_f64 v[34:35], v[34:35], v[2:3], -v[0:1]
	ds_load_b128 v[0:3], v226 offset:7920
	s_waitcnt lgkmcnt(0)
	v_mul_f64 v[36:37], v[50:51], v[2:3]
	s_delay_alu instid0(VALU_DEP_1) | instskip(SKIP_1) | instid1(VALU_DEP_1)
	v_fma_f64 v[148:149], v[48:49], v[0:1], v[36:37]
	v_mul_f64 v[0:1], v[50:51], v[0:1]
	v_fma_f64 v[144:145], v[48:49], v[2:3], -v[0:1]
	scratch_load_b128 v[48:51], off, off offset:788 ; 16-byte Folded Reload
	ds_load_b128 v[0:3], v226 offset:14080
	s_waitcnt vmcnt(0) lgkmcnt(0)
	v_mul_f64 v[36:37], v[50:51], v[2:3]
	s_delay_alu instid0(VALU_DEP_1) | instskip(SKIP_1) | instid1(VALU_DEP_1)
	v_fma_f64 v[154:155], v[48:49], v[0:1], v[36:37]
	v_mul_f64 v[0:1], v[50:51], v[0:1]
	v_fma_f64 v[146:147], v[48:49], v[2:3], -v[0:1]
	scratch_load_b128 v[48:51], off, off offset:884 ; 16-byte Folded Reload
	ds_load_b128 v[0:3], v226 offset:20240
	s_waitcnt vmcnt(0) lgkmcnt(0)
	;; [unrolled: 8-line block ×19, first 2 shown]
	v_mul_f64 v[36:37], v[50:51], v[2:3]
	s_delay_alu instid0(VALU_DEP_1) | instskip(SKIP_2) | instid1(VALU_DEP_2)
	v_fma_f64 v[94:95], v[48:49], v[0:1], v[36:37]
	v_mul_f64 v[0:1], v[50:51], v[0:1]
	v_add_f64 v[50:51], v[10:11], v[14:15]
	v_fma_f64 v[92:93], v[48:49], v[2:3], -v[0:1]
	v_add_f64 v[0:1], v[4:5], -v[8:9]
	v_add_f64 v[2:3], v[16:17], -v[12:13]
	v_add_f64 v[48:49], v[8:9], v[12:13]
	s_delay_alu instid0(VALU_DEP_2) | instskip(SKIP_2) | instid1(VALU_DEP_1)
	v_add_f64 v[36:37], v[0:1], v[2:3]
	v_add_f64 v[0:1], v[6:7], -v[10:11]
	v_add_f64 v[2:3], v[18:19], -v[14:15]
	v_add_f64 v[38:39], v[0:1], v[2:3]
	ds_load_b128 v[0:3], v226
	s_waitcnt lgkmcnt(0)
	v_fma_f64 v[48:49], v[48:49], -0.5, v[0:1]
	v_fma_f64 v[50:51], v[50:51], -0.5, v[2:3]
	s_delay_alu instid0(VALU_DEP_2) | instskip(NEXT) | instid1(VALU_DEP_2)
	v_fma_f64 v[56:57], v[52:53], s[10:11], v[48:49]
	v_fma_f64 v[58:59], v[64:65], s[12:13], v[50:51]
	;; [unrolled: 1-line block ×4, first 2 shown]
	s_delay_alu instid0(VALU_DEP_4) | instskip(NEXT) | instid1(VALU_DEP_4)
	v_fma_f64 v[56:57], v[54:55], s[0:1], v[56:57]
	v_fma_f64 v[58:59], v[66:67], s[8:9], v[58:59]
	s_delay_alu instid0(VALU_DEP_4) | instskip(NEXT) | instid1(VALU_DEP_4)
	v_fma_f64 v[48:49], v[54:55], s[8:9], v[48:49]
	v_fma_f64 v[50:51], v[66:67], s[0:1], v[50:51]
	;; [unrolled: 3-line block ×4, first 2 shown]
	v_add_f64 v[36:37], v[4:5], v[16:17]
	v_add_f64 v[38:39], v[6:7], v[18:19]
	s_delay_alu instid0(VALU_DEP_2) | instskip(NEXT) | instid1(VALU_DEP_2)
	v_fma_f64 v[36:37], v[36:37], -0.5, v[0:1]
	v_fma_f64 v[38:39], v[38:39], -0.5, v[2:3]
	v_add_f64 v[0:1], v[0:1], v[4:5]
	v_add_f64 v[2:3], v[2:3], v[6:7]
	v_add_f64 v[4:5], v[8:9], -v[4:5]
	v_add_f64 v[6:7], v[10:11], -v[6:7]
	s_delay_alu instid0(VALU_DEP_4) | instskip(NEXT) | instid1(VALU_DEP_4)
	v_add_f64 v[0:1], v[0:1], v[8:9]
	v_add_f64 v[2:3], v[2:3], v[10:11]
	v_add_f64 v[8:9], v[12:13], -v[16:17]
	v_fma_f64 v[10:11], v[54:55], s[10:11], v[36:37]
	s_delay_alu instid0(VALU_DEP_4) | instskip(NEXT) | instid1(VALU_DEP_4)
	v_add_f64 v[0:1], v[0:1], v[12:13]
	v_add_f64 v[2:3], v[2:3], v[14:15]
	v_fma_f64 v[12:13], v[66:67], s[10:11], v[38:39]
	v_add_f64 v[4:5], v[4:5], v[8:9]
	s_delay_alu instid0(VALU_DEP_4) | instskip(NEXT) | instid1(VALU_DEP_4)
	v_add_f64 v[68:69], v[0:1], v[16:17]
	v_add_f64 v[70:71], v[2:3], v[18:19]
	v_add_f64 v[0:1], v[14:15], -v[18:19]
	v_fma_f64 v[2:3], v[54:55], s[12:13], v[36:37]
	v_fma_f64 v[14:15], v[66:67], s[12:13], v[38:39]
	;; [unrolled: 1-line block ×3, first 2 shown]
	v_add_f64 v[16:17], v[26:27], -v[30:31]
	v_add_f64 v[36:37], v[24:25], -v[28:29]
	;; [unrolled: 1-line block ×4, first 2 shown]
	v_add_f64 v[0:1], v[6:7], v[0:1]
	v_fma_f64 v[2:3], v[52:53], s[0:1], v[2:3]
	v_fma_f64 v[6:7], v[52:53], s[8:9], v[10:11]
	;; [unrolled: 1-line block ×3, first 2 shown]
	s_delay_alu instid0(VALU_DEP_4) | instskip(NEXT) | instid1(VALU_DEP_4)
	v_fma_f64 v[78:79], v[0:1], s[14:15], v[8:9]
	v_fma_f64 v[76:77], v[4:5], s[14:15], v[2:3]
	v_add_f64 v[2:3], v[28:29], -v[32:33]
	s_delay_alu instid0(VALU_DEP_4) | instskip(SKIP_3) | instid1(VALU_DEP_3)
	v_fma_f64 v[74:75], v[0:1], s[14:15], v[10:11]
	v_add_f64 v[0:1], v[24:25], -v[20:21]
	v_fma_f64 v[72:73], v[4:5], s[14:15], v[6:7]
	v_add_f64 v[4:5], v[20:21], v[32:33]
	v_add_f64 v[8:9], v[0:1], v[2:3]
	v_add_f64 v[0:1], v[26:27], -v[22:23]
	v_add_f64 v[2:3], v[30:31], -v[34:35]
	s_delay_alu instid0(VALU_DEP_1) | instskip(SKIP_4) | instid1(VALU_DEP_1)
	v_add_f64 v[10:11], v[0:1], v[2:3]
	ds_load_b128 v[0:3], v226 offset:880
	s_waitcnt lgkmcnt(0)
	v_fma_f64 v[12:13], v[4:5], -0.5, v[0:1]
	v_add_f64 v[4:5], v[22:23], v[34:35]
	v_fma_f64 v[14:15], v[4:5], -0.5, v[2:3]
	s_delay_alu instid0(VALU_DEP_3) | instskip(SKIP_1) | instid1(VALU_DEP_3)
	v_fma_f64 v[4:5], v[16:17], s[12:13], v[12:13]
	v_fma_f64 v[12:13], v[16:17], s[10:11], v[12:13]
	;; [unrolled: 1-line block ×4, first 2 shown]
	s_delay_alu instid0(VALU_DEP_4) | instskip(NEXT) | instid1(VALU_DEP_4)
	v_fma_f64 v[4:5], v[18:19], s[0:1], v[4:5]
	v_fma_f64 v[12:13], v[18:19], s[8:9], v[12:13]
	s_delay_alu instid0(VALU_DEP_4) | instskip(NEXT) | instid1(VALU_DEP_4)
	v_fma_f64 v[6:7], v[38:39], s[8:9], v[6:7]
	v_fma_f64 v[14:15], v[38:39], s[0:1], v[14:15]
	;; [unrolled: 3-line block ×3, first 2 shown]
	v_add_f64 v[12:13], v[24:25], v[28:29]
	v_fma_f64 v[6:7], v[10:11], s[14:15], v[6:7]
	v_fma_f64 v[10:11], v[10:11], s[14:15], v[14:15]
	v_add_f64 v[14:15], v[26:27], v[30:31]
	s_delay_alu instid0(VALU_DEP_4) | instskip(SKIP_2) | instid1(VALU_DEP_4)
	v_fma_f64 v[12:13], v[12:13], -0.5, v[0:1]
	v_add_f64 v[0:1], v[0:1], v[20:21]
	v_add_f64 v[20:21], v[20:21], -v[24:25]
	v_fma_f64 v[14:15], v[14:15], -0.5, v[2:3]
	v_add_f64 v[2:3], v[2:3], v[22:23]
	s_delay_alu instid0(VALU_DEP_4)
	v_add_f64 v[0:1], v[0:1], v[24:25]
	v_fma_f64 v[24:25], v[18:19], s[10:11], v[12:13]
	v_fma_f64 v[12:13], v[18:19], s[12:13], v[12:13]
	v_add_f64 v[18:19], v[32:33], -v[28:29]
	v_add_f64 v[2:3], v[2:3], v[26:27]
	v_add_f64 v[0:1], v[0:1], v[28:29]
	v_add_f64 v[28:29], v[148:149], -v[154:155]
	v_fma_f64 v[12:13], v[16:17], s[8:9], v[12:13]
	v_add_f64 v[18:19], v[20:21], v[18:19]
	v_fma_f64 v[20:21], v[16:17], s[0:1], v[24:25]
	v_add_f64 v[16:17], v[144:145], -v[156:157]
	v_add_f64 v[2:3], v[2:3], v[30:31]
	v_add_f64 v[160:161], v[0:1], v[32:33]
	v_add_f64 v[0:1], v[22:23], -v[26:27]
	v_fma_f64 v[22:23], v[38:39], s[12:13], v[14:15]
	v_fma_f64 v[14:15], v[38:39], s[10:11], v[14:15]
	;; [unrolled: 1-line block ×4, first 2 shown]
	v_add_f64 v[20:21], v[154:155], -v[152:153]
	v_add_f64 v[162:163], v[2:3], v[34:35]
	v_add_f64 v[2:3], v[34:35], -v[30:31]
	v_fma_f64 v[14:15], v[36:37], s[0:1], v[14:15]
	s_delay_alu instid0(VALU_DEP_2) | instskip(SKIP_2) | instid1(VALU_DEP_3)
	v_add_f64 v[0:1], v[0:1], v[2:3]
	v_fma_f64 v[2:3], v[36:37], s[8:9], v[22:23]
	v_add_f64 v[22:23], v[148:149], -v[158:159]
	v_fma_f64 v[170:171], v[0:1], s[14:15], v[14:15]
	s_delay_alu instid0(VALU_DEP_3)
	v_fma_f64 v[166:167], v[0:1], s[14:15], v[2:3]
	ds_load_b128 v[0:3], v226 offset:5280
	ds_load_b128 v[172:175], v226 offset:1760
	;; [unrolled: 1-line block ×5, first 2 shown]
	s_waitcnt lgkmcnt(0)
	s_barrier
	buffer_gl0_inv
	ds_store_b128 v226, v[68:71]
	ds_store_b128 v226, v[60:63] offset:1232
	ds_store_b128 v226, v[76:79] offset:2464
	;; [unrolled: 1-line block ×4, first 2 shown]
	scratch_load_b32 v12, off, off offset:1420 ; 4-byte Folded Reload
	v_add_f64 v[14:15], v[146:147], -v[150:151]
	s_waitcnt vmcnt(0)
	ds_store_b128 v12, v[160:163]
	ds_store_b128 v12, v[164:167] offset:1232
	ds_store_b128 v12, v[4:7] offset:2464
	;; [unrolled: 1-line block ×4, first 2 shown]
	v_add_f64 v[4:5], v[154:155], -v[148:149]
	v_add_f64 v[6:7], v[152:153], -v[158:159]
	v_add_f64 v[26:27], v[174:175], v[144:145]
	v_add_f64 v[24:25], v[172:173], v[148:149]
	s_delay_alu instid0(VALU_DEP_3) | instskip(SKIP_2) | instid1(VALU_DEP_4)
	v_add_f64 v[8:9], v[4:5], v[6:7]
	v_add_f64 v[4:5], v[146:147], -v[144:145]
	v_add_f64 v[6:7], v[150:151], -v[156:157]
	v_add_f64 v[24:25], v[24:25], v[154:155]
	s_delay_alu instid0(VALU_DEP_2) | instskip(SKIP_2) | instid1(VALU_DEP_4)
	v_add_f64 v[10:11], v[4:5], v[6:7]
	v_add_f64 v[4:5], v[148:149], v[158:159]
	v_add_f64 v[6:7], v[144:145], v[156:157]
	v_add_f64 v[24:25], v[24:25], v[152:153]
	s_delay_alu instid0(VALU_DEP_3) | instskip(NEXT) | instid1(VALU_DEP_3)
	v_fma_f64 v[12:13], v[4:5], -0.5, v[172:173]
	v_fma_f64 v[18:19], v[6:7], -0.5, v[174:175]
	s_delay_alu instid0(VALU_DEP_3) | instskip(SKIP_1) | instid1(VALU_DEP_4)
	v_add_f64 v[56:57], v[24:25], v[158:159]
	v_add_f64 v[24:25], v[156:157], -v[150:151]
	v_fma_f64 v[4:5], v[14:15], s[12:13], v[12:13]
	v_fma_f64 v[12:13], v[14:15], s[10:11], v[12:13]
	;; [unrolled: 1-line block ×4, first 2 shown]
	s_delay_alu instid0(VALU_DEP_4) | instskip(NEXT) | instid1(VALU_DEP_4)
	v_fma_f64 v[4:5], v[16:17], s[0:1], v[4:5]
	v_fma_f64 v[12:13], v[16:17], s[8:9], v[12:13]
	s_delay_alu instid0(VALU_DEP_4) | instskip(NEXT) | instid1(VALU_DEP_4)
	v_fma_f64 v[6:7], v[22:23], s[8:9], v[6:7]
	v_fma_f64 v[18:19], v[22:23], s[0:1], v[18:19]
	s_delay_alu instid0(VALU_DEP_4) | instskip(NEXT) | instid1(VALU_DEP_4)
	v_fma_f64 v[4:5], v[8:9], s[14:15], v[4:5]
	v_fma_f64 v[8:9], v[8:9], s[14:15], v[12:13]
	v_add_f64 v[12:13], v[154:155], v[152:153]
	v_fma_f64 v[6:7], v[10:11], s[14:15], v[6:7]
	v_fma_f64 v[10:11], v[10:11], s[14:15], v[18:19]
	v_add_f64 v[18:19], v[146:147], v[150:151]
	s_delay_alu instid0(VALU_DEP_4) | instskip(NEXT) | instid1(VALU_DEP_2)
	v_fma_f64 v[12:13], v[12:13], -0.5, v[172:173]
	v_fma_f64 v[18:19], v[18:19], -0.5, v[174:175]
	s_delay_alu instid0(VALU_DEP_2)
	v_fma_f64 v[30:31], v[16:17], s[10:11], v[12:13]
	v_fma_f64 v[12:13], v[16:17], s[12:13], v[12:13]
	v_add_f64 v[16:17], v[26:27], v[146:147]
	v_add_f64 v[26:27], v[158:159], -v[152:153]
	v_fma_f64 v[32:33], v[22:23], s[12:13], v[18:19]
	v_fma_f64 v[18:19], v[22:23], s[10:11], v[18:19]
	;; [unrolled: 1-line block ×3, first 2 shown]
	v_add_f64 v[16:17], v[16:17], v[150:151]
	v_add_f64 v[22:23], v[28:29], v[26:27]
	v_fma_f64 v[26:27], v[14:15], s[0:1], v[30:31]
	v_fma_f64 v[18:19], v[20:21], s[0:1], v[18:19]
	v_add_f64 v[28:29], v[132:133], -v[136:137]
	v_add_f64 v[58:59], v[16:17], v[156:157]
	v_fma_f64 v[68:69], v[22:23], s[14:15], v[12:13]
	scratch_load_b32 v12, off, off offset:1348 ; 4-byte Folded Reload
	v_add_f64 v[16:17], v[144:145], -v[146:147]
	v_fma_f64 v[60:61], v[22:23], s[14:15], v[26:27]
	v_add_f64 v[22:23], v[132:133], -v[142:143]
	v_add_f64 v[26:27], v[66:67], v[128:129]
	s_delay_alu instid0(VALU_DEP_4) | instskip(SKIP_3) | instid1(VALU_DEP_4)
	v_add_f64 v[14:15], v[16:17], v[24:25]
	v_fma_f64 v[16:17], v[20:21], s[8:9], v[32:33]
	v_add_f64 v[20:21], v[136:137], -v[138:139]
	v_add_f64 v[24:25], v[64:65], v[132:133]
	v_fma_f64 v[70:71], v[14:15], s[14:15], v[18:19]
	s_delay_alu instid0(VALU_DEP_4)
	v_fma_f64 v[62:63], v[14:15], s[14:15], v[16:17]
	v_add_f64 v[14:15], v[130:131], -v[134:135]
	v_add_f64 v[16:17], v[128:129], -v[140:141]
	v_add_f64 v[24:25], v[24:25], v[136:137]
	s_waitcnt vmcnt(0)
	ds_store_b128 v12, v[56:59]
	ds_store_b128 v12, v[60:63] offset:1232
	ds_store_b128 v12, v[4:7] offset:2464
	;; [unrolled: 1-line block ×4, first 2 shown]
	v_add_f64 v[4:5], v[136:137], -v[132:133]
	v_add_f64 v[6:7], v[138:139], -v[142:143]
	v_add_f64 v[24:25], v[24:25], v[138:139]
	s_delay_alu instid0(VALU_DEP_2) | instskip(SKIP_2) | instid1(VALU_DEP_4)
	v_add_f64 v[8:9], v[4:5], v[6:7]
	v_add_f64 v[4:5], v[130:131], -v[128:129]
	v_add_f64 v[6:7], v[134:135], -v[140:141]
	v_add_f64 v[56:57], v[24:25], v[142:143]
	v_add_f64 v[24:25], v[140:141], -v[134:135]
	s_delay_alu instid0(VALU_DEP_3) | instskip(SKIP_2) | instid1(VALU_DEP_2)
	v_add_f64 v[10:11], v[4:5], v[6:7]
	v_add_f64 v[4:5], v[132:133], v[142:143]
	;; [unrolled: 1-line block ×3, first 2 shown]
	v_fma_f64 v[12:13], v[4:5], -0.5, v[64:65]
	s_delay_alu instid0(VALU_DEP_2) | instskip(NEXT) | instid1(VALU_DEP_2)
	v_fma_f64 v[18:19], v[6:7], -0.5, v[66:67]
	v_fma_f64 v[4:5], v[14:15], s[12:13], v[12:13]
	v_fma_f64 v[12:13], v[14:15], s[10:11], v[12:13]
	s_delay_alu instid0(VALU_DEP_3) | instskip(SKIP_1) | instid1(VALU_DEP_4)
	v_fma_f64 v[6:7], v[20:21], s[10:11], v[18:19]
	v_fma_f64 v[18:19], v[20:21], s[12:13], v[18:19]
	;; [unrolled: 1-line block ×3, first 2 shown]
	s_delay_alu instid0(VALU_DEP_4) | instskip(NEXT) | instid1(VALU_DEP_4)
	v_fma_f64 v[12:13], v[16:17], s[8:9], v[12:13]
	v_fma_f64 v[6:7], v[22:23], s[8:9], v[6:7]
	s_delay_alu instid0(VALU_DEP_4) | instskip(NEXT) | instid1(VALU_DEP_4)
	v_fma_f64 v[18:19], v[22:23], s[0:1], v[18:19]
	v_fma_f64 v[4:5], v[8:9], s[14:15], v[4:5]
	s_delay_alu instid0(VALU_DEP_4) | instskip(SKIP_4) | instid1(VALU_DEP_4)
	v_fma_f64 v[8:9], v[8:9], s[14:15], v[12:13]
	v_add_f64 v[12:13], v[136:137], v[138:139]
	v_fma_f64 v[6:7], v[10:11], s[14:15], v[6:7]
	v_fma_f64 v[10:11], v[10:11], s[14:15], v[18:19]
	v_add_f64 v[18:19], v[130:131], v[134:135]
	v_fma_f64 v[12:13], v[12:13], -0.5, v[64:65]
	s_delay_alu instid0(VALU_DEP_2) | instskip(NEXT) | instid1(VALU_DEP_2)
	v_fma_f64 v[18:19], v[18:19], -0.5, v[66:67]
	v_fma_f64 v[30:31], v[16:17], s[10:11], v[12:13]
	v_fma_f64 v[12:13], v[16:17], s[12:13], v[12:13]
	v_add_f64 v[16:17], v[26:27], v[130:131]
	v_add_f64 v[26:27], v[142:143], -v[138:139]
	v_fma_f64 v[32:33], v[22:23], s[12:13], v[18:19]
	v_fma_f64 v[18:19], v[22:23], s[10:11], v[18:19]
	;; [unrolled: 1-line block ×3, first 2 shown]
	v_add_f64 v[16:17], v[16:17], v[134:135]
	v_add_f64 v[22:23], v[28:29], v[26:27]
	v_fma_f64 v[26:27], v[14:15], s[0:1], v[30:31]
	v_fma_f64 v[18:19], v[20:21], s[0:1], v[18:19]
	v_add_f64 v[28:29], v[116:117], -v[122:123]
	v_add_f64 v[58:59], v[16:17], v[140:141]
	v_fma_f64 v[64:65], v[22:23], s[14:15], v[12:13]
	scratch_load_b32 v12, off, off offset:1312 ; 4-byte Folded Reload
	v_add_f64 v[16:17], v[128:129], -v[130:131]
	v_fma_f64 v[60:61], v[22:23], s[14:15], v[26:27]
	v_add_f64 v[22:23], v[116:117], -v[126:127]
	v_add_f64 v[26:27], v[54:55], v[112:113]
	s_delay_alu instid0(VALU_DEP_4) | instskip(SKIP_3) | instid1(VALU_DEP_4)
	v_add_f64 v[14:15], v[16:17], v[24:25]
	v_fma_f64 v[16:17], v[20:21], s[8:9], v[32:33]
	v_add_f64 v[20:21], v[122:123], -v[120:121]
	v_add_f64 v[24:25], v[52:53], v[116:117]
	v_fma_f64 v[66:67], v[14:15], s[14:15], v[18:19]
	s_delay_alu instid0(VALU_DEP_4)
	v_fma_f64 v[62:63], v[14:15], s[14:15], v[16:17]
	v_add_f64 v[14:15], v[114:115], -v[118:119]
	v_add_f64 v[16:17], v[112:113], -v[124:125]
	v_add_f64 v[24:25], v[24:25], v[122:123]
	s_waitcnt vmcnt(0)
	ds_store_b128 v12, v[56:59] offset:12320
	ds_store_b128 v12, v[60:63] offset:13552
	;; [unrolled: 1-line block ×5, first 2 shown]
	v_add_f64 v[4:5], v[122:123], -v[116:117]
	v_add_f64 v[6:7], v[120:121], -v[126:127]
	v_add_f64 v[24:25], v[24:25], v[120:121]
	s_delay_alu instid0(VALU_DEP_2) | instskip(SKIP_2) | instid1(VALU_DEP_1)
	v_add_f64 v[8:9], v[4:5], v[6:7]
	v_add_f64 v[4:5], v[114:115], -v[112:113]
	v_add_f64 v[6:7], v[118:119], -v[124:125]
	v_add_f64 v[10:11], v[4:5], v[6:7]
	v_add_f64 v[4:5], v[116:117], v[126:127]
	;; [unrolled: 1-line block ×3, first 2 shown]
	s_delay_alu instid0(VALU_DEP_2) | instskip(NEXT) | instid1(VALU_DEP_2)
	v_fma_f64 v[12:13], v[4:5], -0.5, v[52:53]
	v_fma_f64 v[18:19], v[6:7], -0.5, v[54:55]
	s_delay_alu instid0(VALU_DEP_2) | instskip(SKIP_1) | instid1(VALU_DEP_3)
	v_fma_f64 v[4:5], v[14:15], s[12:13], v[12:13]
	v_fma_f64 v[12:13], v[14:15], s[10:11], v[12:13]
	;; [unrolled: 1-line block ×4, first 2 shown]
	s_delay_alu instid0(VALU_DEP_4) | instskip(NEXT) | instid1(VALU_DEP_4)
	v_fma_f64 v[4:5], v[16:17], s[0:1], v[4:5]
	v_fma_f64 v[12:13], v[16:17], s[8:9], v[12:13]
	s_delay_alu instid0(VALU_DEP_4) | instskip(NEXT) | instid1(VALU_DEP_4)
	v_fma_f64 v[6:7], v[22:23], s[8:9], v[6:7]
	v_fma_f64 v[18:19], v[22:23], s[0:1], v[18:19]
	;; [unrolled: 3-line block ×3, first 2 shown]
	v_add_f64 v[12:13], v[122:123], v[120:121]
	v_fma_f64 v[6:7], v[10:11], s[14:15], v[6:7]
	v_fma_f64 v[10:11], v[10:11], s[14:15], v[18:19]
	v_add_f64 v[18:19], v[114:115], v[118:119]
	s_delay_alu instid0(VALU_DEP_4) | instskip(SKIP_2) | instid1(VALU_DEP_4)
	v_fma_f64 v[12:13], v[12:13], -0.5, v[52:53]
	v_add_f64 v[52:53], v[24:25], v[126:127]
	v_add_f64 v[24:25], v[124:125], -v[118:119]
	v_fma_f64 v[18:19], v[18:19], -0.5, v[54:55]
	s_delay_alu instid0(VALU_DEP_4)
	v_fma_f64 v[30:31], v[16:17], s[10:11], v[12:13]
	v_fma_f64 v[12:13], v[16:17], s[12:13], v[12:13]
	v_add_f64 v[16:17], v[26:27], v[114:115]
	v_add_f64 v[26:27], v[126:127], -v[120:121]
	v_fma_f64 v[32:33], v[22:23], s[12:13], v[18:19]
	v_fma_f64 v[18:19], v[22:23], s[10:11], v[18:19]
	;; [unrolled: 1-line block ×3, first 2 shown]
	v_add_f64 v[16:17], v[16:17], v[118:119]
	v_add_f64 v[22:23], v[28:29], v[26:27]
	v_fma_f64 v[26:27], v[14:15], s[0:1], v[30:31]
	v_fma_f64 v[18:19], v[20:21], s[0:1], v[18:19]
	v_add_f64 v[28:29], v[100:101], -v[104:105]
	v_add_f64 v[54:55], v[16:17], v[124:125]
	v_fma_f64 v[60:61], v[22:23], s[14:15], v[12:13]
	scratch_load_b32 v12, off, off offset:1252 ; 4-byte Folded Reload
	v_add_f64 v[16:17], v[112:113], -v[114:115]
	v_fma_f64 v[56:57], v[22:23], s[14:15], v[26:27]
	v_add_f64 v[22:23], v[100:101], -v[110:111]
	v_add_f64 v[26:27], v[50:51], v[96:97]
	s_delay_alu instid0(VALU_DEP_4) | instskip(SKIP_3) | instid1(VALU_DEP_4)
	v_add_f64 v[14:15], v[16:17], v[24:25]
	v_fma_f64 v[16:17], v[20:21], s[8:9], v[32:33]
	v_add_f64 v[20:21], v[104:105], -v[106:107]
	v_add_f64 v[24:25], v[48:49], v[100:101]
	v_fma_f64 v[62:63], v[14:15], s[14:15], v[18:19]
	s_delay_alu instid0(VALU_DEP_4)
	v_fma_f64 v[58:59], v[14:15], s[14:15], v[16:17]
	v_add_f64 v[14:15], v[98:99], -v[102:103]
	v_add_f64 v[16:17], v[96:97], -v[108:109]
	v_add_f64 v[24:25], v[24:25], v[104:105]
	s_waitcnt vmcnt(0)
	ds_store_b128 v12, v[52:55]
	ds_store_b128 v12, v[56:59] offset:1232
	ds_store_b128 v12, v[4:7] offset:2464
	;; [unrolled: 1-line block ×4, first 2 shown]
	v_add_f64 v[4:5], v[104:105], -v[100:101]
	v_add_f64 v[6:7], v[106:107], -v[110:111]
	v_add_f64 v[24:25], v[24:25], v[106:107]
	s_delay_alu instid0(VALU_DEP_2) | instskip(SKIP_2) | instid1(VALU_DEP_1)
	v_add_f64 v[8:9], v[4:5], v[6:7]
	v_add_f64 v[4:5], v[98:99], -v[96:97]
	v_add_f64 v[6:7], v[102:103], -v[108:109]
	v_add_f64 v[10:11], v[4:5], v[6:7]
	v_add_f64 v[4:5], v[100:101], v[110:111]
	;; [unrolled: 1-line block ×3, first 2 shown]
	s_delay_alu instid0(VALU_DEP_2) | instskip(NEXT) | instid1(VALU_DEP_2)
	v_fma_f64 v[12:13], v[4:5], -0.5, v[48:49]
	v_fma_f64 v[18:19], v[6:7], -0.5, v[50:51]
	s_delay_alu instid0(VALU_DEP_2) | instskip(SKIP_1) | instid1(VALU_DEP_3)
	v_fma_f64 v[4:5], v[14:15], s[12:13], v[12:13]
	v_fma_f64 v[12:13], v[14:15], s[10:11], v[12:13]
	;; [unrolled: 1-line block ×4, first 2 shown]
	s_delay_alu instid0(VALU_DEP_4) | instskip(NEXT) | instid1(VALU_DEP_4)
	v_fma_f64 v[4:5], v[16:17], s[0:1], v[4:5]
	v_fma_f64 v[12:13], v[16:17], s[8:9], v[12:13]
	s_delay_alu instid0(VALU_DEP_4) | instskip(NEXT) | instid1(VALU_DEP_4)
	v_fma_f64 v[6:7], v[22:23], s[8:9], v[6:7]
	v_fma_f64 v[18:19], v[22:23], s[0:1], v[18:19]
	;; [unrolled: 3-line block ×3, first 2 shown]
	v_add_f64 v[12:13], v[104:105], v[106:107]
	v_fma_f64 v[6:7], v[10:11], s[14:15], v[6:7]
	v_fma_f64 v[10:11], v[10:11], s[14:15], v[18:19]
	v_add_f64 v[18:19], v[98:99], v[102:103]
	s_delay_alu instid0(VALU_DEP_4) | instskip(SKIP_2) | instid1(VALU_DEP_4)
	v_fma_f64 v[12:13], v[12:13], -0.5, v[48:49]
	v_add_f64 v[48:49], v[24:25], v[110:111]
	v_add_f64 v[24:25], v[108:109], -v[102:103]
	v_fma_f64 v[18:19], v[18:19], -0.5, v[50:51]
	s_delay_alu instid0(VALU_DEP_4)
	v_fma_f64 v[30:31], v[16:17], s[10:11], v[12:13]
	v_fma_f64 v[12:13], v[16:17], s[12:13], v[12:13]
	v_add_f64 v[16:17], v[26:27], v[98:99]
	v_add_f64 v[26:27], v[110:111], -v[106:107]
	v_fma_f64 v[32:33], v[22:23], s[12:13], v[18:19]
	v_fma_f64 v[18:19], v[22:23], s[10:11], v[18:19]
	;; [unrolled: 1-line block ×3, first 2 shown]
	v_add_f64 v[16:17], v[16:17], v[102:103]
	v_add_f64 v[22:23], v[28:29], v[26:27]
	v_fma_f64 v[26:27], v[14:15], s[0:1], v[30:31]
	v_fma_f64 v[18:19], v[20:21], s[0:1], v[18:19]
	v_add_f64 v[28:29], v[80:81], -v[82:83]
	v_add_f64 v[30:31], v[92:93], -v[86:87]
	v_add_f64 v[50:51], v[16:17], v[108:109]
	v_fma_f64 v[56:57], v[22:23], s[14:15], v[12:13]
	scratch_load_b32 v12, off, off offset:1248 ; 4-byte Folded Reload
	v_add_f64 v[16:17], v[96:97], -v[98:99]
	v_fma_f64 v[52:53], v[22:23], s[14:15], v[26:27]
	v_add_f64 v[22:23], v[84:85], -v[94:95]
	s_delay_alu instid0(VALU_DEP_3) | instskip(SKIP_3) | instid1(VALU_DEP_4)
	v_add_f64 v[14:15], v[16:17], v[24:25]
	v_fma_f64 v[16:17], v[20:21], s[8:9], v[32:33]
	v_add_f64 v[24:25], v[84:85], -v[90:91]
	v_add_f64 v[20:21], v[90:91], -v[88:89]
	v_fma_f64 v[58:59], v[14:15], s[14:15], v[18:19]
	s_delay_alu instid0(VALU_DEP_4)
	v_fma_f64 v[54:55], v[14:15], s[14:15], v[16:17]
	v_add_f64 v[14:15], v[82:83], -v[86:87]
	v_add_f64 v[16:17], v[80:81], -v[92:93]
	s_waitcnt vmcnt(0)
	ds_store_b128 v12, v[48:51]
	ds_store_b128 v12, v[52:55] offset:1232
	ds_store_b128 v12, v[4:7] offset:2464
	;; [unrolled: 1-line block ×4, first 2 shown]
	v_add_f64 v[4:5], v[90:91], -v[84:85]
	v_add_f64 v[6:7], v[88:89], -v[94:95]
	s_delay_alu instid0(VALU_DEP_1) | instskip(SKIP_2) | instid1(VALU_DEP_1)
	v_add_f64 v[8:9], v[4:5], v[6:7]
	v_add_f64 v[4:5], v[82:83], -v[80:81]
	v_add_f64 v[6:7], v[86:87], -v[92:93]
	v_add_f64 v[10:11], v[4:5], v[6:7]
	v_add_f64 v[4:5], v[84:85], v[94:95]
	;; [unrolled: 1-line block ×3, first 2 shown]
	s_delay_alu instid0(VALU_DEP_2) | instskip(NEXT) | instid1(VALU_DEP_2)
	v_fma_f64 v[12:13], v[4:5], -0.5, v[0:1]
	v_fma_f64 v[18:19], v[6:7], -0.5, v[2:3]
	s_delay_alu instid0(VALU_DEP_2) | instskip(SKIP_1) | instid1(VALU_DEP_3)
	v_fma_f64 v[4:5], v[14:15], s[12:13], v[12:13]
	v_fma_f64 v[12:13], v[14:15], s[10:11], v[12:13]
	;; [unrolled: 1-line block ×4, first 2 shown]
	s_delay_alu instid0(VALU_DEP_4) | instskip(NEXT) | instid1(VALU_DEP_4)
	v_fma_f64 v[4:5], v[16:17], s[0:1], v[4:5]
	v_fma_f64 v[12:13], v[16:17], s[8:9], v[12:13]
	s_delay_alu instid0(VALU_DEP_4) | instskip(NEXT) | instid1(VALU_DEP_4)
	v_fma_f64 v[6:7], v[22:23], s[8:9], v[6:7]
	v_fma_f64 v[18:19], v[22:23], s[0:1], v[18:19]
	s_delay_alu instid0(VALU_DEP_4) | instskip(NEXT) | instid1(VALU_DEP_4)
	v_fma_f64 v[4:5], v[8:9], s[14:15], v[4:5]
	v_fma_f64 v[8:9], v[8:9], s[14:15], v[12:13]
	v_add_f64 v[12:13], v[90:91], v[88:89]
	v_fma_f64 v[6:7], v[10:11], s[14:15], v[6:7]
	v_fma_f64 v[10:11], v[10:11], s[14:15], v[18:19]
	v_add_f64 v[18:19], v[82:83], v[86:87]
	s_delay_alu instid0(VALU_DEP_4) | instskip(SKIP_1) | instid1(VALU_DEP_3)
	v_fma_f64 v[12:13], v[12:13], -0.5, v[0:1]
	v_add_f64 v[0:1], v[0:1], v[84:85]
	v_fma_f64 v[18:19], v[18:19], -0.5, v[2:3]
	v_add_f64 v[2:3], v[2:3], v[80:81]
	s_delay_alu instid0(VALU_DEP_4)
	v_fma_f64 v[26:27], v[16:17], s[10:11], v[12:13]
	v_fma_f64 v[12:13], v[16:17], s[12:13], v[12:13]
	v_add_f64 v[16:17], v[94:95], -v[88:89]
	v_add_f64 v[0:1], v[0:1], v[90:91]
	v_add_f64 v[2:3], v[2:3], v[82:83]
	v_fma_f64 v[32:33], v[22:23], s[12:13], v[18:19]
	v_fma_f64 v[18:19], v[22:23], s[10:11], v[18:19]
	;; [unrolled: 1-line block ×4, first 2 shown]
	v_add_f64 v[16:17], v[24:25], v[16:17]
	v_add_f64 v[0:1], v[0:1], v[88:89]
	;; [unrolled: 1-line block ×4, first 2 shown]
	v_fma_f64 v[24:25], v[20:21], s[8:9], v[32:33]
	v_fma_f64 v[18:19], v[20:21], s[0:1], v[18:19]
	;; [unrolled: 1-line block ×3, first 2 shown]
	scratch_load_b32 v12, off, off offset:1060 ; 4-byte Folded Reload
	v_add_f64 v[0:1], v[0:1], v[94:95]
	v_add_f64 v[2:3], v[2:3], v[92:93]
	v_fma_f64 v[48:49], v[16:17], s[14:15], v[22:23]
	v_fma_f64 v[50:51], v[14:15], s[14:15], v[24:25]
	;; [unrolled: 1-line block ×3, first 2 shown]
	s_waitcnt vmcnt(0)
	ds_store_b128 v12, v[0:3] offset:24640
	ds_store_b128 v12, v[48:51] offset:25872
	;; [unrolled: 1-line block ×5, first 2 shown]
	s_waitcnt lgkmcnt(0)
	s_barrier
	buffer_gl0_inv
	scratch_load_b128 v[6:9], off, off offset:1184 ; 16-byte Folded Reload
	ds_load_b128 v[0:3], v226 offset:6160
	s_waitcnt vmcnt(0) lgkmcnt(0)
	v_mul_f64 v[4:5], v[8:9], v[2:3]
	s_delay_alu instid0(VALU_DEP_1) | instskip(SKIP_1) | instid1(VALU_DEP_1)
	v_fma_f64 v[12:13], v[6:7], v[0:1], v[4:5]
	v_mul_f64 v[0:1], v[8:9], v[0:1]
	v_fma_f64 v[14:15], v[6:7], v[2:3], -v[0:1]
	scratch_load_b128 v[6:9], off, off offset:1460 ; 16-byte Folded Reload
	ds_load_b128 v[0:3], v226 offset:12320
	s_waitcnt vmcnt(0) lgkmcnt(0)
	v_mul_f64 v[4:5], v[8:9], v[2:3]
	s_delay_alu instid0(VALU_DEP_1) | instskip(SKIP_1) | instid1(VALU_DEP_1)
	v_fma_f64 v[16:17], v[6:7], v[0:1], v[4:5]
	v_mul_f64 v[0:1], v[8:9], v[0:1]
	v_fma_f64 v[20:21], v[6:7], v[2:3], -v[0:1]
	;; [unrolled: 8-line block ×4, first 2 shown]
	scratch_load_b128 v[6:9], off, off offset:1524 ; 16-byte Folded Reload
	ds_load_b128 v[0:3], v226 offset:7040
	v_add_f64 v[30:31], v[14:15], -v[26:27]
	s_waitcnt vmcnt(0) lgkmcnt(0)
	v_mul_f64 v[4:5], v[8:9], v[2:3]
	s_delay_alu instid0(VALU_DEP_1) | instskip(SKIP_1) | instid1(VALU_DEP_1)
	v_fma_f64 v[32:33], v[6:7], v[0:1], v[4:5]
	v_mul_f64 v[0:1], v[8:9], v[0:1]
	v_fma_f64 v[36:37], v[6:7], v[2:3], -v[0:1]
	scratch_load_b128 v[6:9], off, off offset:1540 ; 16-byte Folded Reload
	ds_load_b128 v[0:3], v226 offset:13200
	s_waitcnt vmcnt(0) lgkmcnt(0)
	v_mul_f64 v[4:5], v[8:9], v[2:3]
	s_delay_alu instid0(VALU_DEP_1) | instskip(SKIP_1) | instid1(VALU_DEP_2)
	v_fma_f64 v[34:35], v[6:7], v[0:1], v[4:5]
	v_mul_f64 v[0:1], v[8:9], v[0:1]
	v_add_f64 v[140:141], v[34:35], -v[32:33]
	s_delay_alu instid0(VALU_DEP_2) | instskip(SKIP_4) | instid1(VALU_DEP_1)
	v_fma_f64 v[38:39], v[6:7], v[2:3], -v[0:1]
	scratch_load_b128 v[6:9], off, off offset:1556 ; 16-byte Folded Reload
	ds_load_b128 v[0:3], v226 offset:19360
	s_waitcnt vmcnt(0) lgkmcnt(0)
	v_mul_f64 v[4:5], v[8:9], v[2:3]
	v_fma_f64 v[48:49], v[6:7], v[0:1], v[4:5]
	v_mul_f64 v[0:1], v[8:9], v[0:1]
	s_delay_alu instid0(VALU_DEP_2) | instskip(NEXT) | instid1(VALU_DEP_2)
	v_add_f64 v[138:139], v[34:35], -v[48:49]
	v_fma_f64 v[50:51], v[6:7], v[2:3], -v[0:1]
	scratch_load_b128 v[6:9], off, off offset:1572 ; 16-byte Folded Reload
	ds_load_b128 v[0:3], v226 offset:25520
	s_waitcnt vmcnt(0) lgkmcnt(0)
	v_mul_f64 v[4:5], v[8:9], v[2:3]
	s_delay_alu instid0(VALU_DEP_1) | instskip(SKIP_1) | instid1(VALU_DEP_1)
	v_fma_f64 v[52:53], v[6:7], v[0:1], v[4:5]
	v_mul_f64 v[0:1], v[8:9], v[0:1]
	v_fma_f64 v[54:55], v[6:7], v[2:3], -v[0:1]
	scratch_load_b128 v[6:9], off, off offset:1620 ; 16-byte Folded Reload
	ds_load_b128 v[0:3], v226 offset:7920
	s_waitcnt vmcnt(0) lgkmcnt(0)
	v_mul_f64 v[4:5], v[8:9], v[2:3]
	s_delay_alu instid0(VALU_DEP_1) | instskip(SKIP_1) | instid1(VALU_DEP_1)
	v_fma_f64 v[56:57], v[6:7], v[0:1], v[4:5]
	v_mul_f64 v[0:1], v[8:9], v[0:1]
	;; [unrolled: 8-line block ×7, first 2 shown]
	v_fma_f64 v[114:115], v[6:7], v[2:3], -v[0:1]
	scratch_load_b128 v[6:9], off, off offset:1908 ; 16-byte Folded Reload
	ds_load_b128 v[0:3], v226 offset:21120
	s_waitcnt vmcnt(0) lgkmcnt(0)
	v_mul_f64 v[4:5], v[8:9], v[2:3]
	s_delay_alu instid0(VALU_DEP_1) | instskip(SKIP_1) | instid1(VALU_DEP_2)
	v_fma_f64 v[122:123], v[6:7], v[0:1], v[4:5]
	v_mul_f64 v[0:1], v[8:9], v[0:1]
	v_add_f64 v[146:147], v[120:121], -v[122:123]
	s_delay_alu instid0(VALU_DEP_2) | instskip(SKIP_4) | instid1(VALU_DEP_1)
	v_fma_f64 v[118:119], v[6:7], v[2:3], -v[0:1]
	scratch_load_b128 v[6:9], off, off offset:1940 ; 16-byte Folded Reload
	ds_load_b128 v[0:3], v226 offset:27280
	s_waitcnt vmcnt(0) lgkmcnt(0)
	v_mul_f64 v[4:5], v[8:9], v[2:3]
	v_fma_f64 v[134:135], v[6:7], v[0:1], v[4:5]
	v_mul_f64 v[0:1], v[8:9], v[0:1]
	s_delay_alu instid0(VALU_DEP_2) | instskip(NEXT) | instid1(VALU_DEP_2)
	v_add_f64 v[144:145], v[116:117], -v[134:135]
	v_fma_f64 v[124:125], v[6:7], v[2:3], -v[0:1]
	scratch_load_b128 v[6:9], off, off offset:1956 ; 16-byte Folded Reload
	ds_load_b128 v[0:3], v226 offset:9680
	s_waitcnt vmcnt(0) lgkmcnt(0)
	v_mul_f64 v[4:5], v[8:9], v[2:3]
	s_delay_alu instid0(VALU_DEP_1) | instskip(SKIP_1) | instid1(VALU_DEP_1)
	v_fma_f64 v[100:101], v[6:7], v[0:1], v[4:5]
	v_mul_f64 v[0:1], v[8:9], v[0:1]
	v_fma_f64 v[96:97], v[6:7], v[2:3], -v[0:1]
	scratch_load_b128 v[6:9], off, off offset:1972 ; 16-byte Folded Reload
	ds_load_b128 v[0:3], v226 offset:15840
	s_waitcnt vmcnt(0) lgkmcnt(0)
	v_mul_f64 v[4:5], v[8:9], v[2:3]
	s_delay_alu instid0(VALU_DEP_1) | instskip(SKIP_1) | instid1(VALU_DEP_1)
	v_fma_f64 v[106:107], v[6:7], v[0:1], v[4:5]
	v_mul_f64 v[0:1], v[8:9], v[0:1]
	v_fma_f64 v[98:99], v[6:7], v[2:3], -v[0:1]
	scratch_load_b128 v[6:9], off, off offset:2004 ; 16-byte Folded Reload
	ds_load_b128 v[0:3], v226 offset:22000
	s_waitcnt vmcnt(0) lgkmcnt(0)
	v_mul_f64 v[4:5], v[8:9], v[2:3]
	s_delay_alu instid0(VALU_DEP_1) | instskip(SKIP_1) | instid1(VALU_DEP_2)
	v_fma_f64 v[104:105], v[6:7], v[0:1], v[4:5]
	v_mul_f64 v[0:1], v[8:9], v[0:1]
	v_add_f64 v[150:151], v[106:107], -v[104:105]
	s_delay_alu instid0(VALU_DEP_2) | instskip(SKIP_4) | instid1(VALU_DEP_1)
	v_fma_f64 v[102:103], v[6:7], v[2:3], -v[0:1]
	scratch_load_b128 v[6:9], off, off offset:1988 ; 16-byte Folded Reload
	ds_load_b128 v[0:3], v226 offset:28160
	s_waitcnt vmcnt(0) lgkmcnt(0)
	v_mul_f64 v[4:5], v[8:9], v[2:3]
	v_fma_f64 v[110:111], v[6:7], v[0:1], v[4:5]
	v_mul_f64 v[0:1], v[8:9], v[0:1]
	s_delay_alu instid0(VALU_DEP_1) | instskip(SKIP_4) | instid1(VALU_DEP_1)
	v_fma_f64 v[108:109], v[6:7], v[2:3], -v[0:1]
	scratch_load_b128 v[6:9], off, off offset:2020 ; 16-byte Folded Reload
	ds_load_b128 v[0:3], v226 offset:10560
	s_waitcnt vmcnt(0) lgkmcnt(0)
	v_mul_f64 v[4:5], v[8:9], v[2:3]
	v_fma_f64 v[84:85], v[6:7], v[0:1], v[4:5]
	v_mul_f64 v[0:1], v[8:9], v[0:1]
	s_delay_alu instid0(VALU_DEP_1) | instskip(SKIP_4) | instid1(VALU_DEP_1)
	;; [unrolled: 8-line block ×3, first 2 shown]
	v_fma_f64 v[82:83], v[6:7], v[2:3], -v[0:1]
	scratch_load_b128 v[6:9], off, off offset:2036 ; 16-byte Folded Reload
	ds_load_b128 v[0:3], v226 offset:22880
	s_waitcnt vmcnt(0) lgkmcnt(0)
	v_mul_f64 v[4:5], v[8:9], v[2:3]
	v_fma_f64 v[90:91], v[6:7], v[0:1], v[4:5]
	v_mul_f64 v[0:1], v[8:9], v[0:1]
	s_delay_alu instid0(VALU_DEP_2) | instskip(NEXT) | instid1(VALU_DEP_2)
	v_add_f64 v[154:155], v[88:89], -v[90:91]
	v_fma_f64 v[86:87], v[6:7], v[2:3], -v[0:1]
	scratch_load_b128 v[6:9], off, off offset:2068 ; 16-byte Folded Reload
	ds_load_b128 v[0:3], v226 offset:29040
	s_waitcnt vmcnt(0) lgkmcnt(0)
	v_mul_f64 v[4:5], v[8:9], v[2:3]
	s_delay_alu instid0(VALU_DEP_1) | instskip(SKIP_1) | instid1(VALU_DEP_1)
	v_fma_f64 v[94:95], v[6:7], v[0:1], v[4:5]
	v_mul_f64 v[0:1], v[8:9], v[0:1]
	v_fma_f64 v[92:93], v[6:7], v[2:3], -v[0:1]
	scratch_load_b128 v[6:9], off, off offset:2084 ; 16-byte Folded Reload
	ds_load_b128 v[0:3], v226 offset:11440
	s_waitcnt vmcnt(0) lgkmcnt(0)
	v_mul_f64 v[4:5], v[8:9], v[2:3]
	s_delay_alu instid0(VALU_DEP_1) | instskip(SKIP_1) | instid1(VALU_DEP_1)
	v_fma_f64 v[68:69], v[6:7], v[0:1], v[4:5]
	v_mul_f64 v[0:1], v[8:9], v[0:1]
	;; [unrolled: 8-line block ×3, first 2 shown]
	v_fma_f64 v[66:67], v[6:7], v[2:3], -v[0:1]
	ds_load_b128 v[0:3], v226 offset:23760
	s_waitcnt lgkmcnt(0)
	v_mul_f64 v[4:5], v[42:43], v[2:3]
	s_delay_alu instid0(VALU_DEP_1) | instskip(SKIP_1) | instid1(VALU_DEP_1)
	v_fma_f64 v[72:73], v[40:41], v[0:1], v[4:5]
	v_mul_f64 v[0:1], v[42:43], v[0:1]
	v_fma_f64 v[70:71], v[40:41], v[2:3], -v[0:1]
	ds_load_b128 v[0:3], v226 offset:29920
	v_add_f64 v[40:41], v[20:21], -v[22:23]
	s_waitcnt lgkmcnt(0)
	v_mul_f64 v[4:5], v[46:47], v[2:3]
	s_delay_alu instid0(VALU_DEP_1)
	v_fma_f64 v[78:79], v[44:45], v[0:1], v[4:5]
	v_mul_f64 v[0:1], v[46:47], v[0:1]
	ds_load_b128 v[4:7], v226
	v_add_f64 v[46:47], v[16:17], -v[18:19]
	v_add_f64 v[158:159], v[68:69], -v[78:79]
	v_fma_f64 v[76:77], v[44:45], v[2:3], -v[0:1]
	v_add_f64 v[0:1], v[12:13], -v[16:17]
	v_add_f64 v[2:3], v[24:25], -v[18:19]
	;; [unrolled: 1-line block ×3, first 2 shown]
	s_delay_alu instid0(VALU_DEP_2) | instskip(SKIP_2) | instid1(VALU_DEP_1)
	v_add_f64 v[8:9], v[0:1], v[2:3]
	v_add_f64 v[0:1], v[14:15], -v[20:21]
	v_add_f64 v[2:3], v[26:27], -v[22:23]
	v_add_f64 v[10:11], v[0:1], v[2:3]
	v_add_f64 v[0:1], v[16:17], v[18:19]
	;; [unrolled: 1-line block ×3, first 2 shown]
	s_waitcnt lgkmcnt(0)
	s_delay_alu instid0(VALU_DEP_2) | instskip(NEXT) | instid1(VALU_DEP_2)
	v_fma_f64 v[28:29], v[0:1], -0.5, v[4:5]
	v_fma_f64 v[42:43], v[2:3], -0.5, v[6:7]
	s_delay_alu instid0(VALU_DEP_2) | instskip(NEXT) | instid1(VALU_DEP_2)
	v_fma_f64 v[0:1], v[30:31], s[10:11], v[28:29]
	v_fma_f64 v[2:3], v[44:45], s[12:13], v[42:43]
	;; [unrolled: 1-line block ×4, first 2 shown]
	s_delay_alu instid0(VALU_DEP_4) | instskip(NEXT) | instid1(VALU_DEP_4)
	v_fma_f64 v[0:1], v[40:41], s[0:1], v[0:1]
	v_fma_f64 v[2:3], v[46:47], s[8:9], v[2:3]
	s_delay_alu instid0(VALU_DEP_4) | instskip(NEXT) | instid1(VALU_DEP_4)
	v_fma_f64 v[28:29], v[40:41], s[8:9], v[28:29]
	v_fma_f64 v[42:43], v[46:47], s[0:1], v[42:43]
	;; [unrolled: 3-line block ×4, first 2 shown]
	v_add_f64 v[28:29], v[12:13], v[24:25]
	v_add_f64 v[42:43], v[14:15], v[26:27]
	s_delay_alu instid0(VALU_DEP_2) | instskip(NEXT) | instid1(VALU_DEP_2)
	v_fma_f64 v[28:29], v[28:29], -0.5, v[4:5]
	v_fma_f64 v[42:43], v[42:43], -0.5, v[6:7]
	v_add_f64 v[4:5], v[4:5], v[12:13]
	v_add_f64 v[6:7], v[6:7], v[14:15]
	v_add_f64 v[12:13], v[16:17], -v[12:13]
	v_fma_f64 v[136:137], v[40:41], s[12:13], v[28:29]
	v_fma_f64 v[28:29], v[40:41], s[10:11], v[28:29]
	v_add_f64 v[4:5], v[4:5], v[16:17]
	v_add_f64 v[6:7], v[6:7], v[20:21]
	v_add_f64 v[40:41], v[18:19], -v[24:25]
	s_delay_alu instid0(VALU_DEP_3) | instskip(NEXT) | instid1(VALU_DEP_3)
	v_add_f64 v[4:5], v[4:5], v[18:19]
	v_add_f64 v[6:7], v[6:7], v[22:23]
	s_delay_alu instid0(VALU_DEP_2) | instskip(NEXT) | instid1(VALU_DEP_2)
	v_add_f64 v[16:17], v[4:5], v[24:25]
	v_add_f64 v[18:19], v[6:7], v[26:27]
	v_add_f64 v[4:5], v[20:21], -v[14:15]
	v_add_f64 v[6:7], v[22:23], -v[26:27]
	v_fma_f64 v[14:15], v[46:47], s[10:11], v[42:43]
	v_fma_f64 v[20:21], v[46:47], s[12:13], v[42:43]
	v_add_f64 v[22:23], v[12:13], v[40:41]
	v_fma_f64 v[12:13], v[30:31], s[0:1], v[136:137]
	v_fma_f64 v[24:25], v[30:31], s[8:9], v[28:29]
	ds_load_b128 v[28:31], v226 offset:880
	v_add_f64 v[42:43], v[36:37], -v[54:55]
	v_add_f64 v[136:137], v[32:33], -v[52:53]
	v_add_f64 v[6:7], v[4:5], v[6:7]
	v_fma_f64 v[4:5], v[44:45], s[8:9], v[14:15]
	v_fma_f64 v[20:21], v[44:45], s[0:1], v[20:21]
	v_add_f64 v[44:45], v[38:39], -v[50:51]
	v_fma_f64 v[12:13], v[22:23], s[14:15], v[12:13]
	s_delay_alu instid0(VALU_DEP_4) | instskip(SKIP_4) | instid1(VALU_DEP_1)
	v_fma_f64 v[14:15], v[6:7], s[14:15], v[4:5]
	v_fma_f64 v[4:5], v[22:23], s[14:15], v[24:25]
	;; [unrolled: 1-line block ×3, first 2 shown]
	v_add_f64 v[20:21], v[32:33], -v[34:35]
	v_add_f64 v[22:23], v[52:53], -v[48:49]
	v_add_f64 v[24:25], v[20:21], v[22:23]
	v_add_f64 v[20:21], v[36:37], -v[38:39]
	v_add_f64 v[22:23], v[54:55], -v[50:51]
	s_delay_alu instid0(VALU_DEP_1) | instskip(SKIP_3) | instid1(VALU_DEP_2)
	v_add_f64 v[26:27], v[20:21], v[22:23]
	v_add_f64 v[20:21], v[34:35], v[48:49]
	;; [unrolled: 1-line block ×3, first 2 shown]
	s_waitcnt lgkmcnt(0)
	v_fma_f64 v[40:41], v[20:21], -0.5, v[28:29]
	s_delay_alu instid0(VALU_DEP_2) | instskip(NEXT) | instid1(VALU_DEP_2)
	v_fma_f64 v[46:47], v[22:23], -0.5, v[30:31]
	v_fma_f64 v[20:21], v[42:43], s[10:11], v[40:41]
	s_delay_alu instid0(VALU_DEP_2) | instskip(SKIP_2) | instid1(VALU_DEP_4)
	v_fma_f64 v[22:23], v[136:137], s[12:13], v[46:47]
	v_fma_f64 v[40:41], v[42:43], s[12:13], v[40:41]
	;; [unrolled: 1-line block ×4, first 2 shown]
	s_delay_alu instid0(VALU_DEP_4) | instskip(NEXT) | instid1(VALU_DEP_4)
	v_fma_f64 v[22:23], v[138:139], s[8:9], v[22:23]
	v_fma_f64 v[40:41], v[44:45], s[8:9], v[40:41]
	s_delay_alu instid0(VALU_DEP_4) | instskip(NEXT) | instid1(VALU_DEP_4)
	v_fma_f64 v[46:47], v[138:139], s[0:1], v[46:47]
	v_fma_f64 v[20:21], v[24:25], s[14:15], v[20:21]
	s_delay_alu instid0(VALU_DEP_4) | instskip(NEXT) | instid1(VALU_DEP_4)
	v_fma_f64 v[22:23], v[26:27], s[14:15], v[22:23]
	v_fma_f64 v[24:25], v[24:25], s[14:15], v[40:41]
	s_delay_alu instid0(VALU_DEP_4) | instskip(SKIP_2) | instid1(VALU_DEP_2)
	v_fma_f64 v[26:27], v[26:27], s[14:15], v[46:47]
	v_add_f64 v[40:41], v[32:33], v[52:53]
	v_add_f64 v[46:47], v[36:37], v[54:55]
	v_fma_f64 v[40:41], v[40:41], -0.5, v[28:29]
	s_delay_alu instid0(VALU_DEP_2) | instskip(SKIP_2) | instid1(VALU_DEP_4)
	v_fma_f64 v[46:47], v[46:47], -0.5, v[30:31]
	v_add_f64 v[28:29], v[28:29], v[32:33]
	v_add_f64 v[30:31], v[30:31], v[36:37]
	v_fma_f64 v[142:143], v[44:45], s[12:13], v[40:41]
	v_fma_f64 v[40:41], v[44:45], s[10:11], v[40:41]
	s_delay_alu instid0(VALU_DEP_4) | instskip(NEXT) | instid1(VALU_DEP_4)
	v_add_f64 v[28:29], v[28:29], v[34:35]
	v_add_f64 v[30:31], v[30:31], v[38:39]
	v_add_f64 v[44:45], v[48:49], -v[52:53]
	s_delay_alu instid0(VALU_DEP_4) | instskip(NEXT) | instid1(VALU_DEP_4)
	v_fma_f64 v[40:41], v[42:43], s[8:9], v[40:41]
	v_add_f64 v[28:29], v[28:29], v[48:49]
	s_delay_alu instid0(VALU_DEP_4) | instskip(NEXT) | instid1(VALU_DEP_4)
	v_add_f64 v[30:31], v[30:31], v[50:51]
	v_add_f64 v[44:45], v[140:141], v[44:45]
	v_add_f64 v[140:141], v[56:57], -v[130:131]
	s_delay_alu instid0(VALU_DEP_4) | instskip(NEXT) | instid1(VALU_DEP_4)
	v_add_f64 v[32:33], v[28:29], v[52:53]
	v_add_f64 v[34:35], v[30:31], v[54:55]
	v_add_f64 v[28:29], v[38:39], -v[36:37]
	v_add_f64 v[30:31], v[50:51], -v[54:55]
	v_fma_f64 v[36:37], v[138:139], s[10:11], v[46:47]
	v_fma_f64 v[38:39], v[138:139], s[12:13], v[46:47]
	;; [unrolled: 1-line block ×3, first 2 shown]
	ds_load_b128 v[48:51], v226 offset:1760
	v_add_f64 v[54:55], v[58:59], -v[132:133]
	v_add_f64 v[142:143], v[60:61], -v[126:127]
	v_add_f64 v[30:31], v[28:29], v[30:31]
	v_fma_f64 v[28:29], v[136:137], s[8:9], v[36:37]
	v_fma_f64 v[42:43], v[136:137], s[0:1], v[38:39]
	v_fma_f64 v[36:37], v[44:45], s[14:15], v[46:47]
	v_add_f64 v[46:47], v[62:63], v[128:129]
	v_add_f64 v[136:137], v[62:63], -v[128:129]
	v_fma_f64 v[38:39], v[30:31], s[14:15], v[28:29]
	v_fma_f64 v[28:29], v[44:45], s[14:15], v[40:41]
	v_fma_f64 v[30:31], v[30:31], s[14:15], v[42:43]
	v_add_f64 v[40:41], v[56:57], -v[60:61]
	v_add_f64 v[42:43], v[130:131], -v[126:127]
	;; [unrolled: 1-line block ×3, first 2 shown]
	s_waitcnt lgkmcnt(0)
	v_fma_f64 v[138:139], v[46:47], -0.5, v[50:51]
	s_delay_alu instid0(VALU_DEP_3) | instskip(SKIP_1) | instid1(VALU_DEP_3)
	v_add_f64 v[40:41], v[40:41], v[42:43]
	v_add_f64 v[42:43], v[58:59], -v[62:63]
	v_fma_f64 v[46:47], v[140:141], s[12:13], v[138:139]
	v_fma_f64 v[138:139], v[140:141], s[10:11], v[138:139]
	s_delay_alu instid0(VALU_DEP_3) | instskip(SKIP_1) | instid1(VALU_DEP_4)
	v_add_f64 v[42:43], v[42:43], v[44:45]
	v_add_f64 v[44:45], v[60:61], v[126:127]
	v_fma_f64 v[46:47], v[142:143], s[8:9], v[46:47]
	s_delay_alu instid0(VALU_DEP_4) | instskip(NEXT) | instid1(VALU_DEP_3)
	v_fma_f64 v[138:139], v[142:143], s[0:1], v[138:139]
	v_fma_f64 v[52:53], v[44:45], -0.5, v[48:49]
	s_delay_alu instid0(VALU_DEP_3) | instskip(NEXT) | instid1(VALU_DEP_3)
	v_fma_f64 v[46:47], v[42:43], s[14:15], v[46:47]
	v_fma_f64 v[42:43], v[42:43], s[14:15], v[138:139]
	v_add_f64 v[138:139], v[58:59], v[132:133]
	s_delay_alu instid0(VALU_DEP_4) | instskip(SKIP_1) | instid1(VALU_DEP_3)
	v_fma_f64 v[44:45], v[54:55], s[10:11], v[52:53]
	v_fma_f64 v[52:53], v[54:55], s[12:13], v[52:53]
	v_fma_f64 v[138:139], v[138:139], -0.5, v[50:51]
	v_add_f64 v[50:51], v[50:51], v[58:59]
	v_add_f64 v[58:59], v[62:63], -v[58:59]
	v_fma_f64 v[44:45], v[136:137], s[0:1], v[44:45]
	v_fma_f64 v[52:53], v[136:137], s[8:9], v[52:53]
	s_delay_alu instid0(VALU_DEP_4) | instskip(SKIP_1) | instid1(VALU_DEP_4)
	v_add_f64 v[50:51], v[50:51], v[62:63]
	v_add_f64 v[62:63], v[128:129], -v[132:133]
	v_fma_f64 v[44:45], v[40:41], s[14:15], v[44:45]
	s_delay_alu instid0(VALU_DEP_4) | instskip(SKIP_4) | instid1(VALU_DEP_4)
	v_fma_f64 v[40:41], v[40:41], s[14:15], v[52:53]
	v_add_f64 v[52:53], v[56:57], v[130:131]
	v_add_f64 v[50:51], v[50:51], v[128:129]
	v_fma_f64 v[128:129], v[142:143], s[10:11], v[138:139]
	v_add_f64 v[58:59], v[58:59], v[62:63]
	v_fma_f64 v[52:53], v[52:53], -0.5, v[48:49]
	v_add_f64 v[48:49], v[48:49], v[56:57]
	v_add_f64 v[56:57], v[60:61], -v[56:57]
	v_add_f64 v[50:51], v[50:51], v[132:133]
	s_delay_alu instid0(VALU_DEP_3) | instskip(SKIP_2) | instid1(VALU_DEP_3)
	v_add_f64 v[48:49], v[48:49], v[60:61]
	v_fma_f64 v[60:61], v[136:137], s[12:13], v[52:53]
	v_fma_f64 v[52:53], v[136:137], s[10:11], v[52:53]
	v_add_f64 v[48:49], v[48:49], v[126:127]
	v_add_f64 v[126:127], v[126:127], -v[130:131]
	s_delay_alu instid0(VALU_DEP_4) | instskip(NEXT) | instid1(VALU_DEP_3)
	v_fma_f64 v[60:61], v[54:55], s[0:1], v[60:61]
	v_add_f64 v[48:49], v[48:49], v[130:131]
	v_fma_f64 v[130:131], v[142:143], s[12:13], v[138:139]
	s_delay_alu instid0(VALU_DEP_4)
	v_add_f64 v[56:57], v[56:57], v[126:127]
	v_fma_f64 v[126:127], v[54:55], s[8:9], v[52:53]
	v_fma_f64 v[54:55], v[140:141], s[8:9], v[128:129]
	v_add_f64 v[138:139], v[112:113], -v[124:125]
	v_fma_f64 v[62:63], v[140:141], s[0:1], v[130:131]
	v_fma_f64 v[52:53], v[56:57], s[14:15], v[60:61]
	v_add_f64 v[60:61], v[116:117], -v[120:121]
	v_fma_f64 v[54:55], v[58:59], s[14:15], v[54:55]
	v_fma_f64 v[56:57], v[56:57], s[14:15], v[126:127]
	ds_load_b128 v[126:129], v226 offset:2640
	v_add_f64 v[140:141], v[114:115], -v[118:119]
	v_fma_f64 v[58:59], v[58:59], s[14:15], v[62:63]
	v_add_f64 v[62:63], v[134:135], -v[122:123]
	s_delay_alu instid0(VALU_DEP_1) | instskip(SKIP_2) | instid1(VALU_DEP_1)
	v_add_f64 v[130:131], v[60:61], v[62:63]
	v_add_f64 v[60:61], v[112:113], -v[114:115]
	v_add_f64 v[62:63], v[124:125], -v[118:119]
	v_add_f64 v[132:133], v[60:61], v[62:63]
	v_add_f64 v[60:61], v[120:121], v[122:123]
	;; [unrolled: 1-line block ×3, first 2 shown]
	s_waitcnt lgkmcnt(0)
	s_delay_alu instid0(VALU_DEP_2) | instskip(NEXT) | instid1(VALU_DEP_2)
	v_fma_f64 v[136:137], v[60:61], -0.5, v[126:127]
	v_fma_f64 v[142:143], v[62:63], -0.5, v[128:129]
	s_delay_alu instid0(VALU_DEP_2) | instskip(NEXT) | instid1(VALU_DEP_2)
	v_fma_f64 v[60:61], v[138:139], s[10:11], v[136:137]
	v_fma_f64 v[62:63], v[144:145], s[12:13], v[142:143]
	;; [unrolled: 1-line block ×4, first 2 shown]
	s_delay_alu instid0(VALU_DEP_4) | instskip(NEXT) | instid1(VALU_DEP_4)
	v_fma_f64 v[60:61], v[140:141], s[0:1], v[60:61]
	v_fma_f64 v[62:63], v[146:147], s[8:9], v[62:63]
	s_delay_alu instid0(VALU_DEP_4) | instskip(NEXT) | instid1(VALU_DEP_4)
	v_fma_f64 v[136:137], v[140:141], s[8:9], v[136:137]
	v_fma_f64 v[142:143], v[146:147], s[0:1], v[142:143]
	;; [unrolled: 3-line block ×4, first 2 shown]
	v_add_f64 v[136:137], v[116:117], v[134:135]
	v_add_f64 v[142:143], v[112:113], v[124:125]
	s_delay_alu instid0(VALU_DEP_2) | instskip(NEXT) | instid1(VALU_DEP_2)
	v_fma_f64 v[136:137], v[136:137], -0.5, v[126:127]
	v_fma_f64 v[142:143], v[142:143], -0.5, v[128:129]
	v_add_f64 v[126:127], v[126:127], v[116:117]
	v_add_f64 v[128:129], v[128:129], v[112:113]
	v_add_f64 v[116:117], v[120:121], -v[116:117]
	v_add_f64 v[112:113], v[114:115], -v[112:113]
	v_fma_f64 v[148:149], v[140:141], s[12:13], v[136:137]
	v_fma_f64 v[136:137], v[140:141], s[10:11], v[136:137]
	v_add_f64 v[126:127], v[126:127], v[120:121]
	v_add_f64 v[120:121], v[128:129], v[114:115]
	v_add_f64 v[140:141], v[122:123], -v[134:135]
	v_add_f64 v[114:115], v[118:119], -v[124:125]
	s_delay_alu instid0(VALU_DEP_4) | instskip(NEXT) | instid1(VALU_DEP_4)
	v_add_f64 v[126:127], v[126:127], v[122:123]
	v_add_f64 v[128:129], v[120:121], v[118:119]
	v_fma_f64 v[118:119], v[146:147], s[10:11], v[142:143]
	v_add_f64 v[116:117], v[116:117], v[140:141]
	s_delay_alu instid0(VALU_DEP_4) | instskip(NEXT) | instid1(VALU_DEP_4)
	v_add_f64 v[120:121], v[126:127], v[134:135]
	v_add_f64 v[122:123], v[128:129], v[124:125]
	v_fma_f64 v[124:125], v[146:147], s[12:13], v[142:143]
	v_fma_f64 v[126:127], v[138:139], s[0:1], v[148:149]
	;; [unrolled: 1-line block ×3, first 2 shown]
	v_add_f64 v[134:135], v[112:113], v[114:115]
	v_fma_f64 v[114:115], v[144:145], s[8:9], v[118:119]
	v_add_f64 v[136:137], v[98:99], v[102:103]
	v_add_f64 v[142:143], v[96:97], -v[108:109]
	v_add_f64 v[148:149], v[100:101], -v[110:111]
	v_fma_f64 v[118:119], v[144:145], s[0:1], v[124:125]
	v_fma_f64 v[112:113], v[116:117], s[14:15], v[126:127]
	v_add_f64 v[124:125], v[100:101], -v[106:107]
	v_add_f64 v[126:127], v[110:111], -v[104:105]
	v_fma_f64 v[116:117], v[116:117], s[14:15], v[128:129]
	v_fma_f64 v[114:115], v[134:135], s[14:15], v[114:115]
	v_add_f64 v[144:145], v[98:99], -v[102:103]
	v_fma_f64 v[118:119], v[134:135], s[14:15], v[118:119]
	v_add_f64 v[134:135], v[106:107], v[104:105]
	v_add_f64 v[128:129], v[124:125], v[126:127]
	v_add_f64 v[124:125], v[96:97], -v[98:99]
	v_add_f64 v[126:127], v[108:109], -v[102:103]
	s_delay_alu instid0(VALU_DEP_1) | instskip(SKIP_4) | instid1(VALU_DEP_2)
	v_add_f64 v[140:141], v[124:125], v[126:127]
	ds_load_b128 v[124:127], v226 offset:3520
	s_waitcnt lgkmcnt(0)
	v_fma_f64 v[138:139], v[134:135], -0.5, v[124:125]
	v_fma_f64 v[146:147], v[136:137], -0.5, v[126:127]
	v_fma_f64 v[134:135], v[142:143], s[10:11], v[138:139]
	s_delay_alu instid0(VALU_DEP_2) | instskip(SKIP_2) | instid1(VALU_DEP_4)
	v_fma_f64 v[136:137], v[148:149], s[12:13], v[146:147]
	v_fma_f64 v[138:139], v[142:143], s[12:13], v[138:139]
	;; [unrolled: 1-line block ×4, first 2 shown]
	s_delay_alu instid0(VALU_DEP_4) | instskip(NEXT) | instid1(VALU_DEP_4)
	v_fma_f64 v[136:137], v[150:151], s[8:9], v[136:137]
	v_fma_f64 v[138:139], v[144:145], s[8:9], v[138:139]
	s_delay_alu instid0(VALU_DEP_4) | instskip(NEXT) | instid1(VALU_DEP_4)
	v_fma_f64 v[146:147], v[150:151], s[0:1], v[146:147]
	v_fma_f64 v[134:135], v[128:129], s[14:15], v[134:135]
	s_delay_alu instid0(VALU_DEP_4) | instskip(NEXT) | instid1(VALU_DEP_4)
	v_fma_f64 v[136:137], v[140:141], s[14:15], v[136:137]
	v_fma_f64 v[138:139], v[128:129], s[14:15], v[138:139]
	s_delay_alu instid0(VALU_DEP_4) | instskip(SKIP_2) | instid1(VALU_DEP_2)
	v_fma_f64 v[140:141], v[140:141], s[14:15], v[146:147]
	v_add_f64 v[128:129], v[100:101], v[110:111]
	v_add_f64 v[146:147], v[96:97], v[108:109]
	v_fma_f64 v[128:129], v[128:129], -0.5, v[124:125]
	s_delay_alu instid0(VALU_DEP_2)
	v_fma_f64 v[146:147], v[146:147], -0.5, v[126:127]
	v_add_f64 v[124:125], v[124:125], v[100:101]
	v_add_f64 v[126:127], v[126:127], v[96:97]
	v_add_f64 v[100:101], v[106:107], -v[100:101]
	v_add_f64 v[96:97], v[98:99], -v[96:97]
	v_fma_f64 v[152:153], v[144:145], s[12:13], v[128:129]
	v_fma_f64 v[128:129], v[144:145], s[10:11], v[128:129]
	v_add_f64 v[124:125], v[124:125], v[106:107]
	v_add_f64 v[106:107], v[126:127], v[98:99]
	v_add_f64 v[126:127], v[104:105], -v[110:111]
	v_add_f64 v[98:99], v[102:103], -v[108:109]
	s_delay_alu instid0(VALU_DEP_4) | instskip(NEXT) | instid1(VALU_DEP_4)
	v_add_f64 v[124:125], v[124:125], v[104:105]
	v_add_f64 v[106:107], v[106:107], v[102:103]
	v_fma_f64 v[102:103], v[150:151], s[10:11], v[146:147]
	v_add_f64 v[100:101], v[100:101], v[126:127]
	v_add_f64 v[126:127], v[96:97], v[98:99]
	;; [unrolled: 1-line block ×4, first 2 shown]
	v_fma_f64 v[108:109], v[150:151], s[12:13], v[146:147]
	v_fma_f64 v[110:111], v[142:143], s[0:1], v[152:153]
	v_fma_f64 v[98:99], v[148:149], s[8:9], v[102:103]
	v_fma_f64 v[124:125], v[142:143], s[8:9], v[128:129]
	v_add_f64 v[146:147], v[80:81], -v[92:93]
	v_add_f64 v[152:153], v[84:85], -v[94:95]
	v_fma_f64 v[102:103], v[148:149], s[0:1], v[108:109]
	v_fma_f64 v[96:97], v[100:101], s[14:15], v[110:111]
	v_add_f64 v[108:109], v[84:85], -v[88:89]
	v_add_f64 v[110:111], v[94:95], -v[90:91]
	v_fma_f64 v[98:99], v[126:127], s[14:15], v[98:99]
	v_fma_f64 v[100:101], v[100:101], s[14:15], v[124:125]
	v_add_f64 v[124:125], v[88:89], v[90:91]
	v_add_f64 v[148:149], v[82:83], -v[86:87]
	v_fma_f64 v[102:103], v[126:127], s[14:15], v[102:103]
	v_add_f64 v[126:127], v[82:83], v[86:87]
	v_add_f64 v[128:129], v[108:109], v[110:111]
	v_add_f64 v[108:109], v[80:81], -v[82:83]
	v_add_f64 v[110:111], v[92:93], -v[86:87]
	s_delay_alu instid0(VALU_DEP_1) | instskip(SKIP_4) | instid1(VALU_DEP_2)
	v_add_f64 v[144:145], v[108:109], v[110:111]
	ds_load_b128 v[108:111], v226 offset:4400
	s_waitcnt lgkmcnt(0)
	v_fma_f64 v[142:143], v[124:125], -0.5, v[108:109]
	v_fma_f64 v[150:151], v[126:127], -0.5, v[110:111]
	v_fma_f64 v[124:125], v[146:147], s[10:11], v[142:143]
	s_delay_alu instid0(VALU_DEP_2) | instskip(SKIP_2) | instid1(VALU_DEP_4)
	v_fma_f64 v[126:127], v[152:153], s[12:13], v[150:151]
	v_fma_f64 v[142:143], v[146:147], s[12:13], v[142:143]
	v_fma_f64 v[150:151], v[152:153], s[10:11], v[150:151]
	v_fma_f64 v[124:125], v[148:149], s[0:1], v[124:125]
	s_delay_alu instid0(VALU_DEP_4) | instskip(NEXT) | instid1(VALU_DEP_4)
	v_fma_f64 v[126:127], v[154:155], s[8:9], v[126:127]
	v_fma_f64 v[142:143], v[148:149], s[8:9], v[142:143]
	s_delay_alu instid0(VALU_DEP_4) | instskip(NEXT) | instid1(VALU_DEP_4)
	v_fma_f64 v[150:151], v[154:155], s[0:1], v[150:151]
	v_fma_f64 v[124:125], v[128:129], s[14:15], v[124:125]
	;; [unrolled: 3-line block ×3, first 2 shown]
	s_delay_alu instid0(VALU_DEP_4) | instskip(SKIP_2) | instid1(VALU_DEP_2)
	v_fma_f64 v[144:145], v[144:145], s[14:15], v[150:151]
	v_add_f64 v[128:129], v[84:85], v[94:95]
	v_add_f64 v[150:151], v[80:81], v[92:93]
	v_fma_f64 v[128:129], v[128:129], -0.5, v[108:109]
	s_delay_alu instid0(VALU_DEP_2)
	v_fma_f64 v[150:151], v[150:151], -0.5, v[110:111]
	v_add_f64 v[108:109], v[108:109], v[84:85]
	v_add_f64 v[110:111], v[110:111], v[80:81]
	v_add_f64 v[84:85], v[88:89], -v[84:85]
	v_add_f64 v[80:81], v[82:83], -v[80:81]
	v_fma_f64 v[156:157], v[148:149], s[12:13], v[128:129]
	v_fma_f64 v[128:129], v[148:149], s[10:11], v[128:129]
	v_add_f64 v[108:109], v[108:109], v[88:89]
	v_add_f64 v[88:89], v[110:111], v[82:83]
	v_add_f64 v[148:149], v[90:91], -v[94:95]
	v_add_f64 v[82:83], v[86:87], -v[92:93]
	s_delay_alu instid0(VALU_DEP_4) | instskip(NEXT) | instid1(VALU_DEP_4)
	v_add_f64 v[108:109], v[108:109], v[90:91]
	v_add_f64 v[110:111], v[88:89], v[86:87]
	v_fma_f64 v[86:87], v[154:155], s[10:11], v[150:151]
	v_add_f64 v[84:85], v[84:85], v[148:149]
	s_delay_alu instid0(VALU_DEP_4) | instskip(NEXT) | instid1(VALU_DEP_4)
	v_add_f64 v[88:89], v[108:109], v[94:95]
	v_add_f64 v[90:91], v[110:111], v[92:93]
	v_fma_f64 v[92:93], v[154:155], s[12:13], v[150:151]
	v_fma_f64 v[94:95], v[146:147], s[0:1], v[156:157]
	v_add_f64 v[110:111], v[80:81], v[82:83]
	v_fma_f64 v[82:83], v[152:153], s[8:9], v[86:87]
	v_fma_f64 v[108:109], v[146:147], s[8:9], v[128:129]
	v_add_f64 v[150:151], v[66:67], -v[70:71]
	v_add_f64 v[156:157], v[74:75], -v[72:73]
	v_fma_f64 v[86:87], v[152:153], s[0:1], v[92:93]
	v_fma_f64 v[80:81], v[84:85], s[14:15], v[94:95]
	v_add_f64 v[92:93], v[74:75], -v[68:69]
	v_add_f64 v[94:95], v[72:73], -v[78:79]
	v_fma_f64 v[82:83], v[110:111], s[14:15], v[82:83]
	v_fma_f64 v[84:85], v[84:85], s[14:15], v[108:109]
	v_add_f64 v[108:109], v[68:69], v[78:79]
	v_add_f64 v[152:153], v[64:65], -v[76:77]
	v_fma_f64 v[86:87], v[110:111], s[14:15], v[86:87]
	v_add_f64 v[110:111], v[64:65], v[76:77]
	v_add_f64 v[128:129], v[92:93], v[94:95]
	v_add_f64 v[92:93], v[66:67], -v[64:65]
	v_add_f64 v[94:95], v[70:71], -v[76:77]
	s_delay_alu instid0(VALU_DEP_1) | instskip(SKIP_4) | instid1(VALU_DEP_2)
	v_add_f64 v[148:149], v[92:93], v[94:95]
	ds_load_b128 v[92:95], v226 offset:5280
	s_waitcnt lgkmcnt(0)
	v_fma_f64 v[146:147], v[108:109], -0.5, v[92:93]
	v_fma_f64 v[154:155], v[110:111], -0.5, v[94:95]
	v_fma_f64 v[108:109], v[150:151], s[12:13], v[146:147]
	s_delay_alu instid0(VALU_DEP_2) | instskip(SKIP_2) | instid1(VALU_DEP_4)
	v_fma_f64 v[110:111], v[156:157], s[10:11], v[154:155]
	v_fma_f64 v[146:147], v[150:151], s[10:11], v[146:147]
	;; [unrolled: 1-line block ×4, first 2 shown]
	s_delay_alu instid0(VALU_DEP_4) | instskip(NEXT) | instid1(VALU_DEP_4)
	v_fma_f64 v[110:111], v[158:159], s[8:9], v[110:111]
	v_fma_f64 v[146:147], v[152:153], s[8:9], v[146:147]
	s_delay_alu instid0(VALU_DEP_4) | instskip(NEXT) | instid1(VALU_DEP_4)
	v_fma_f64 v[154:155], v[158:159], s[0:1], v[154:155]
	v_fma_f64 v[108:109], v[128:129], s[14:15], v[108:109]
	;; [unrolled: 3-line block ×3, first 2 shown]
	s_delay_alu instid0(VALU_DEP_4) | instskip(SKIP_2) | instid1(VALU_DEP_2)
	v_fma_f64 v[148:149], v[148:149], s[14:15], v[154:155]
	v_add_f64 v[128:129], v[74:75], v[72:73]
	v_add_f64 v[154:155], v[66:67], v[70:71]
	v_fma_f64 v[128:129], v[128:129], -0.5, v[92:93]
	s_delay_alu instid0(VALU_DEP_2)
	v_fma_f64 v[154:155], v[154:155], -0.5, v[94:95]
	v_add_f64 v[92:93], v[92:93], v[68:69]
	v_add_f64 v[94:95], v[94:95], v[64:65]
	v_add_f64 v[68:69], v[68:69], -v[74:75]
	v_add_f64 v[64:65], v[64:65], -v[66:67]
	v_fma_f64 v[160:161], v[152:153], s[10:11], v[128:129]
	v_fma_f64 v[128:129], v[152:153], s[12:13], v[128:129]
	v_add_f64 v[92:93], v[92:93], v[74:75]
	v_add_f64 v[74:75], v[94:95], v[66:67]
	v_add_f64 v[94:95], v[78:79], -v[72:73]
	v_add_f64 v[66:67], v[76:77], -v[70:71]
	s_delay_alu instid0(VALU_DEP_4) | instskip(NEXT) | instid1(VALU_DEP_4)
	v_add_f64 v[92:93], v[92:93], v[72:73]
	v_add_f64 v[74:75], v[74:75], v[70:71]
	v_fma_f64 v[70:71], v[158:159], s[12:13], v[154:155]
	v_add_f64 v[68:69], v[68:69], v[94:95]
	v_add_f64 v[94:95], v[64:65], v[66:67]
	;; [unrolled: 1-line block ×4, first 2 shown]
	v_fma_f64 v[76:77], v[158:159], s[10:11], v[154:155]
	v_fma_f64 v[78:79], v[150:151], s[0:1], v[160:161]
	;; [unrolled: 1-line block ×4, first 2 shown]
	s_delay_alu instid0(VALU_DEP_4) | instskip(NEXT) | instid1(VALU_DEP_4)
	v_fma_f64 v[70:71], v[156:157], s[0:1], v[76:77]
	v_fma_f64 v[64:65], v[68:69], s[14:15], v[78:79]
	s_delay_alu instid0(VALU_DEP_4) | instskip(NEXT) | instid1(VALU_DEP_4)
	v_fma_f64 v[66:67], v[94:95], s[14:15], v[66:67]
	v_fma_f64 v[68:69], v[68:69], s[14:15], v[92:93]
	s_mov_b32 s0, 0xebc93598
	s_mov_b32 s1, 0x3f4105b7
	s_delay_alu instid0(VALU_DEP_4)
	v_fma_f64 v[70:71], v[94:95], s[14:15], v[70:71]
	ds_store_b128 v226, v[16:19]
	ds_store_b128 v226, v[32:35] offset:880
	ds_store_b128 v226, v[12:15] offset:12320
	;; [unrolled: 1-line block ×34, first 2 shown]
	s_waitcnt lgkmcnt(0)
	s_barrier
	buffer_gl0_inv
	s_clause 0x5
	scratch_load_b128 v[6:9], off, off offset:236
	scratch_load_b128 v[26:29], off, off offset:220
	;; [unrolled: 1-line block ×6, first 2 shown]
	ds_load_b128 v[0:3], v226
	s_clause 0x13
	scratch_load_b128 v[30:33], off, off offset:348
	scratch_load_b128 v[102:105], off, off offset:524
	;; [unrolled: 1-line block ×19, first 2 shown]
	scratch_load_b32 v106, off, off
	s_waitcnt vmcnt(25) lgkmcnt(0)
	v_mul_f64 v[4:5], v[8:9], v[2:3]
	s_delay_alu instid0(VALU_DEP_1) | instskip(SKIP_1) | instid1(VALU_DEP_1)
	v_fma_f64 v[4:5], v[6:7], v[0:1], v[4:5]
	v_mul_f64 v[0:1], v[8:9], v[0:1]
	v_fma_f64 v[6:7], v[6:7], v[2:3], -v[0:1]
	ds_load_b128 v[0:3], v226 offset:4400
	s_waitcnt vmcnt(23) lgkmcnt(0)
	v_mul_f64 v[8:9], v[12:13], v[2:3]
	s_delay_alu instid0(VALU_DEP_1) | instskip(SKIP_1) | instid1(VALU_DEP_1)
	v_fma_f64 v[8:9], v[10:11], v[0:1], v[8:9]
	v_mul_f64 v[0:1], v[12:13], v[0:1]
	v_fma_f64 v[10:11], v[10:11], v[2:3], -v[0:1]
	ds_load_b128 v[0:3], v226 offset:8800
	;; [unrolled: 7-line block ×5, first 2 shown]
	s_waitcnt lgkmcnt(0)
	v_mul_f64 v[24:25], v[28:29], v[2:3]
	s_delay_alu instid0(VALU_DEP_1) | instskip(SKIP_1) | instid1(VALU_DEP_1)
	v_fma_f64 v[24:25], v[26:27], v[0:1], v[24:25]
	v_mul_f64 v[0:1], v[28:29], v[0:1]
	v_fma_f64 v[26:27], v[26:27], v[2:3], -v[0:1]
	ds_load_b128 v[0:3], v226 offset:26400
	s_waitcnt vmcnt(19) lgkmcnt(0)
	v_mul_f64 v[28:29], v[32:33], v[2:3]
	s_delay_alu instid0(VALU_DEP_1) | instskip(SKIP_1) | instid1(VALU_DEP_1)
	v_fma_f64 v[28:29], v[30:31], v[0:1], v[28:29]
	v_mul_f64 v[0:1], v[32:33], v[0:1]
	v_fma_f64 v[30:31], v[30:31], v[2:3], -v[0:1]
	ds_load_b128 v[0:3], v226 offset:880
	s_waitcnt vmcnt(17) lgkmcnt(0)
	;; [unrolled: 7-line block ×7, first 2 shown]
	v_mul_f64 v[52:53], v[56:57], v[2:3]
	s_delay_alu instid0(VALU_DEP_1) | instskip(SKIP_1) | instid1(VALU_DEP_1)
	v_fma_f64 v[52:53], v[54:55], v[0:1], v[52:53]
	v_mul_f64 v[0:1], v[56:57], v[0:1]
	v_fma_f64 v[54:55], v[54:55], v[2:3], -v[0:1]
	ds_load_b128 v[0:3], v226 offset:27280
	s_waitcnt lgkmcnt(0)
	v_mul_f64 v[56:57], v[60:61], v[2:3]
	s_delay_alu instid0(VALU_DEP_1) | instskip(SKIP_1) | instid1(VALU_DEP_1)
	v_fma_f64 v[56:57], v[58:59], v[0:1], v[56:57]
	v_mul_f64 v[0:1], v[60:61], v[0:1]
	v_fma_f64 v[58:59], v[58:59], v[2:3], -v[0:1]
	ds_load_b128 v[0:3], v226 offset:1760
	s_waitcnt vmcnt(8) lgkmcnt(0)
	v_mul_f64 v[60:61], v[64:65], v[2:3]
	s_delay_alu instid0(VALU_DEP_1) | instskip(SKIP_1) | instid1(VALU_DEP_1)
	v_fma_f64 v[60:61], v[62:63], v[0:1], v[60:61]
	v_mul_f64 v[0:1], v[64:65], v[0:1]
	v_fma_f64 v[62:63], v[62:63], v[2:3], -v[0:1]
	ds_load_b128 v[0:3], v226 offset:6160
	s_waitcnt vmcnt(7) lgkmcnt(0)
	;; [unrolled: 7-line block ×5, first 2 shown]
	v_mul_f64 v[76:77], v[80:81], v[2:3]
	s_delay_alu instid0(VALU_DEP_1) | instskip(SKIP_1) | instid1(VALU_DEP_1)
	v_fma_f64 v[76:77], v[78:79], v[0:1], v[76:77]
	v_mul_f64 v[0:1], v[80:81], v[0:1]
	v_fma_f64 v[78:79], v[78:79], v[2:3], -v[0:1]
	ds_load_b128 v[0:3], v226 offset:23760
	s_waitcnt lgkmcnt(0)
	v_mul_f64 v[80:81], v[84:85], v[2:3]
	s_delay_alu instid0(VALU_DEP_1) | instskip(SKIP_1) | instid1(VALU_DEP_1)
	v_fma_f64 v[80:81], v[82:83], v[0:1], v[80:81]
	v_mul_f64 v[0:1], v[84:85], v[0:1]
	v_fma_f64 v[82:83], v[82:83], v[2:3], -v[0:1]
	ds_load_b128 v[0:3], v226 offset:28160
	s_waitcnt vmcnt(2) lgkmcnt(0)
	v_mul_f64 v[84:85], v[88:89], v[2:3]
	s_delay_alu instid0(VALU_DEP_1) | instskip(SKIP_1) | instid1(VALU_DEP_1)
	v_fma_f64 v[84:85], v[86:87], v[0:1], v[84:85]
	v_mul_f64 v[0:1], v[88:89], v[0:1]
	v_fma_f64 v[86:87], v[86:87], v[2:3], -v[0:1]
	ds_load_b128 v[0:3], v226 offset:2640
	s_waitcnt lgkmcnt(0)
	v_mul_f64 v[88:89], v[92:93], v[2:3]
	s_delay_alu instid0(VALU_DEP_1) | instskip(SKIP_1) | instid1(VALU_DEP_1)
	v_fma_f64 v[88:89], v[90:91], v[0:1], v[88:89]
	v_mul_f64 v[0:1], v[92:93], v[0:1]
	v_fma_f64 v[90:91], v[90:91], v[2:3], -v[0:1]
	ds_load_b128 v[0:3], v226 offset:7040
	s_waitcnt vmcnt(1) lgkmcnt(0)
	v_mul_f64 v[92:93], v[96:97], v[2:3]
	s_delay_alu instid0(VALU_DEP_1) | instskip(SKIP_1) | instid1(VALU_DEP_1)
	v_fma_f64 v[92:93], v[94:95], v[0:1], v[92:93]
	v_mul_f64 v[0:1], v[96:97], v[0:1]
	v_fma_f64 v[94:95], v[94:95], v[2:3], -v[0:1]
	ds_load_b128 v[0:3], v226 offset:11440
	s_waitcnt lgkmcnt(0)
	v_mul_f64 v[96:97], v[100:101], v[2:3]
	s_delay_alu instid0(VALU_DEP_1) | instskip(SKIP_1) | instid1(VALU_DEP_1)
	v_fma_f64 v[96:97], v[98:99], v[0:1], v[96:97]
	v_mul_f64 v[0:1], v[100:101], v[0:1]
	v_fma_f64 v[98:99], v[98:99], v[2:3], -v[0:1]
	ds_load_b128 v[0:3], v226 offset:15840
	s_waitcnt lgkmcnt(0)
	v_mul_f64 v[100:101], v[104:105], v[2:3]
	s_delay_alu instid0(VALU_DEP_1) | instskip(SKIP_1) | instid1(VALU_DEP_1)
	v_fma_f64 v[100:101], v[102:103], v[0:1], v[100:101]
	v_mul_f64 v[0:1], v[104:105], v[0:1]
	v_fma_f64 v[102:103], v[102:103], v[2:3], -v[0:1]
	scratch_load_b64 v[0:1], off, off offset:212 ; 8-byte Folded Reload
	s_waitcnt vmcnt(0)
	v_mov_b32_e32 v104, v0
	s_delay_alu instid0(VALU_DEP_1) | instskip(SKIP_1) | instid1(SALU_CYCLE_1)
	v_mad_u64_u32 v[0:1], null, s6, v104, 0
	s_mul_hi_u32 s6, s4, 0xffff9c50
	s_sub_i32 s6, s6, s4
	s_delay_alu instid0(VALU_DEP_1) | instskip(NEXT) | instid1(VALU_DEP_1)
	v_mad_u64_u32 v[2:3], null, s7, v104, v[1:2]
	v_mov_b32_e32 v1, v2
	v_mad_u64_u32 v[2:3], null, s4, v106, 0
	s_delay_alu instid0(VALU_DEP_2) | instskip(NEXT) | instid1(VALU_DEP_2)
	v_lshlrev_b64 v[0:1], 4, v[0:1]
	v_mad_u64_u32 v[104:105], null, s5, v106, v[3:4]
	s_delay_alu instid0(VALU_DEP_1) | instskip(NEXT) | instid1(VALU_DEP_3)
	v_mov_b32_e32 v3, v104
	v_add_co_u32 v104, vcc_lo, s2, v0
	s_delay_alu instid0(VALU_DEP_4) | instskip(NEXT) | instid1(VALU_DEP_3)
	v_add_co_ci_u32_e32 v105, vcc_lo, s3, v1, vcc_lo
	v_lshlrev_b64 v[0:1], 4, v[2:3]
	v_mul_f64 v[2:3], v[6:7], s[0:1]
	s_mul_i32 s2, s5, 0x1130
	s_mul_hi_u32 s3, s4, 0x1130
	s_mulk_i32 s5, 0x9c50
	s_add_i32 s2, s3, s2
	v_add_co_u32 v104, vcc_lo, v104, v0
	v_add_co_ci_u32_e32 v105, vcc_lo, v105, v1, vcc_lo
	v_mul_f64 v[0:1], v[4:5], s[0:1]
	s_mul_i32 s3, s4, 0x1130
	s_mulk_i32 s4, 0x9c50
	v_add_co_u32 v4, vcc_lo, v104, s3
	v_add_co_ci_u32_e32 v5, vcc_lo, s2, v105, vcc_lo
	s_add_i32 s6, s6, s5
	v_mul_f64 v[6:7], v[46:47], s[0:1]
	global_store_b128 v[104:105], v[0:3], off
	v_mul_f64 v[0:1], v[8:9], s[0:1]
	v_mul_f64 v[2:3], v[10:11], s[0:1]
	;; [unrolled: 1-line block ×4, first 2 shown]
	global_store_b128 v[4:5], v[0:3], off
	v_mul_f64 v[0:1], v[12:13], s[0:1]
	v_mul_f64 v[2:3], v[14:15], s[0:1]
	v_add_co_u32 v4, vcc_lo, v4, s3
	v_add_co_ci_u32_e32 v5, vcc_lo, s2, v5, vcc_lo
	v_mul_f64 v[12:13], v[52:53], s[0:1]
	v_mul_f64 v[14:15], v[54:55], s[0:1]
	global_store_b128 v[4:5], v[0:3], off
	v_mul_f64 v[0:1], v[16:17], s[0:1]
	v_mul_f64 v[2:3], v[18:19], s[0:1]
	v_add_co_u32 v4, vcc_lo, v4, s3
	v_add_co_ci_u32_e32 v5, vcc_lo, s2, v5, vcc_lo
	v_mul_f64 v[18:19], v[58:59], s[0:1]
	global_store_b128 v[4:5], v[0:3], off
	v_mul_f64 v[0:1], v[20:21], s[0:1]
	v_mul_f64 v[2:3], v[22:23], s[0:1]
	v_add_co_u32 v4, vcc_lo, v4, s3
	v_add_co_ci_u32_e32 v5, vcc_lo, s2, v5, vcc_lo
	global_store_b128 v[4:5], v[0:3], off
	v_mul_f64 v[0:1], v[24:25], s[0:1]
	v_mul_f64 v[2:3], v[26:27], s[0:1]
	v_add_co_u32 v4, vcc_lo, v4, s3
	v_add_co_ci_u32_e32 v5, vcc_lo, s2, v5, vcc_lo
	v_mul_f64 v[26:27], v[66:67], s[0:1]
	global_store_b128 v[4:5], v[0:3], off
	v_mul_f64 v[0:1], v[28:29], s[0:1]
	v_mul_f64 v[2:3], v[30:31], s[0:1]
	v_add_co_u32 v4, vcc_lo, v4, s3
	v_add_co_ci_u32_e32 v5, vcc_lo, s2, v5, vcc_lo
	v_mul_f64 v[28:29], v[68:69], s[0:1]
	v_mul_f64 v[30:31], v[70:71], s[0:1]
	scratch_load_b128 v[66:69], off, off offset:380 ; 16-byte Folded Reload
	global_store_b128 v[4:5], v[0:3], off
	v_mul_f64 v[0:1], v[32:33], s[0:1]
	v_mul_f64 v[2:3], v[34:35], s[0:1]
	v_add_co_u32 v4, vcc_lo, v4, s4
	v_add_co_ci_u32_e32 v5, vcc_lo, s6, v5, vcc_lo
	v_mul_f64 v[34:35], v[74:75], s[0:1]
	s_delay_alu instid0(VALU_DEP_3) | instskip(NEXT) | instid1(VALU_DEP_3)
	v_add_co_u32 v16, vcc_lo, v4, s3
	v_add_co_ci_u32_e32 v17, vcc_lo, s2, v5, vcc_lo
	s_delay_alu instid0(VALU_DEP_2) | instskip(NEXT) | instid1(VALU_DEP_2)
	v_add_co_u32 v20, vcc_lo, v16, s3
	v_add_co_ci_u32_e32 v21, vcc_lo, s2, v17, vcc_lo
	s_delay_alu instid0(VALU_DEP_2) | instskip(NEXT) | instid1(VALU_DEP_2)
	;; [unrolled: 3-line block ×3, first 2 shown]
	v_add_co_u32 v32, vcc_lo, v24, s3
	v_add_co_ci_u32_e32 v33, vcc_lo, s2, v25, vcc_lo
	global_store_b128 v[4:5], v[0:3], off
	v_mul_f64 v[0:1], v[36:37], s[0:1]
	v_mul_f64 v[2:3], v[38:39], s[0:1]
	;; [unrolled: 1-line block ×3, first 2 shown]
	v_add_co_u32 v36, vcc_lo, v32, s3
	v_add_co_ci_u32_e32 v37, vcc_lo, s2, v33, vcc_lo
	global_store_b128 v[16:17], v[0:3], off
	v_mul_f64 v[0:1], v[40:41], s[0:1]
	v_mul_f64 v[2:3], v[42:43], s[0:1]
	;; [unrolled: 1-line block ×3, first 2 shown]
	v_add_co_u32 v40, vcc_lo, v36, s3
	v_add_co_ci_u32_e32 v41, vcc_lo, s2, v37, vcc_lo
	s_delay_alu instid0(VALU_DEP_2) | instskip(NEXT) | instid1(VALU_DEP_2)
	v_add_co_u32 v42, vcc_lo, v40, s4
	v_add_co_ci_u32_e32 v43, vcc_lo, s6, v41, vcc_lo
	s_delay_alu instid0(VALU_DEP_2) | instskip(NEXT) | instid1(VALU_DEP_2)
	v_add_co_u32 v46, vcc_lo, v42, s3
	v_add_co_ci_u32_e32 v47, vcc_lo, s2, v43, vcc_lo
	global_store_b128 v[20:21], v[0:3], off
	v_mul_f64 v[2:3], v[62:63], s[0:1]
	global_store_b128 v[24:25], v[4:7], off
	v_mul_f64 v[24:25], v[64:65], s[0:1]
	scratch_load_b128 v[62:65], off, off offset:364 ; 16-byte Folded Reload
	ds_load_b128 v[4:7], v226 offset:20240
	v_mul_f64 v[0:1], v[60:61], s[0:1]
	global_store_b128 v[32:33], v[8:11], off
	v_mul_f64 v[32:33], v[72:73], s[0:1]
	global_store_b128 v[36:37], v[12:15], off
	ds_load_b128 v[36:39], v226 offset:24640
	global_store_b128 v[40:41], v[16:19], off
	ds_load_b128 v[20:23], v226 offset:3520
	ds_load_b128 v[8:11], v226 offset:29040
	v_mul_f64 v[12:13], v[76:77], s[0:1]
	v_mul_f64 v[14:15], v[78:79], s[0:1]
	;; [unrolled: 1-line block ×4, first 2 shown]
	s_clause 0x1
	scratch_load_b128 v[72:75], off, off offset:396
	scratch_load_b128 v[76:79], off, off offset:444
	global_store_b128 v[42:43], v[0:3], off
	v_add_co_u32 v42, vcc_lo, v46, s3
	v_add_co_ci_u32_e32 v43, vcc_lo, s2, v47, vcc_lo
	global_store_b128 v[46:47], v[24:27], off
	v_add_co_u32 v24, vcc_lo, v42, s3
	v_add_co_ci_u32_e32 v25, vcc_lo, s2, v43, vcc_lo
	global_store_b128 v[42:43], v[28:31], off
	ds_load_b128 v[0:3], v226 offset:7920
	v_add_co_u32 v42, vcc_lo, v24, s3
	global_store_b128 v[24:25], v[32:35], off
	v_add_co_ci_u32_e32 v43, vcc_lo, s2, v25, vcc_lo
	v_mul_f64 v[24:25], v[84:85], s[0:1]
	v_mul_f64 v[26:27], v[86:87], s[0:1]
	v_add_co_u32 v32, vcc_lo, v42, s3
	s_delay_alu instid0(VALU_DEP_4)
	v_add_co_ci_u32_e32 v33, vcc_lo, s2, v43, vcc_lo
	v_mul_f64 v[34:35], v[90:91], s[0:1]
	v_mul_f64 v[46:47], v[98:99], s[0:1]
	s_waitcnt vmcnt(3) lgkmcnt(3)
	v_mul_f64 v[48:49], v[68:69], v[38:39]
	v_mul_f64 v[50:51], v[68:69], v[36:37]
	s_delay_alu instid0(VALU_DEP_2) | instskip(NEXT) | instid1(VALU_DEP_2)
	v_fma_f64 v[48:49], v[66:67], v[36:37], v[48:49]
	v_fma_f64 v[50:51], v[66:67], v[38:39], -v[50:51]
	s_waitcnt vmcnt(2)
	v_mul_f64 v[40:41], v[64:65], v[6:7]
	v_mul_f64 v[44:45], v[64:65], v[4:5]
	v_add_co_u32 v64, vcc_lo, v32, s3
	v_add_co_ci_u32_e32 v65, vcc_lo, s2, v33, vcc_lo
	s_waitcnt vmcnt(1) lgkmcnt(1)
	v_mul_f64 v[52:53], v[74:75], v[10:11]
	v_mul_f64 v[54:55], v[74:75], v[8:9]
	s_waitcnt vmcnt(0)
	v_mul_f64 v[56:57], v[78:79], v[22:23]
	v_mul_f64 v[58:59], v[78:79], v[20:21]
	v_fma_f64 v[60:61], v[62:63], v[4:5], v[40:41]
	v_fma_f64 v[62:63], v[62:63], v[6:7], -v[44:45]
	ds_load_b128 v[4:7], v226 offset:12320
	ds_load_b128 v[28:31], v226 offset:21120
	scratch_load_b128 v[80:83], off, off offset:412 ; 16-byte Folded Reload
	global_store_b128 v[42:43], v[12:15], off
	ds_load_b128 v[12:15], v226 offset:16720
	global_store_b128 v[32:33], v[16:19], off
	ds_load_b128 v[16:19], v226 offset:25520
	v_mul_f64 v[32:33], v[88:89], s[0:1]
	v_mul_f64 v[40:41], v[92:93], s[0:1]
	ds_load_b128 v[36:39], v226 offset:29920
	v_mul_f64 v[42:43], v[94:95], s[0:1]
	v_mul_f64 v[44:45], v[96:97], s[0:1]
	global_store_b128 v[64:65], v[24:27], off
	v_fma_f64 v[52:53], v[72:73], v[8:9], v[52:53]
	v_fma_f64 v[54:55], v[72:73], v[10:11], -v[54:55]
	v_fma_f64 v[20:21], v[76:77], v[20:21], v[56:57]
	v_fma_f64 v[22:23], v[76:77], v[22:23], -v[58:59]
	v_add_co_u32 v26, vcc_lo, v64, s4
	v_add_co_ci_u32_e32 v27, vcc_lo, s6, v65, vcc_lo
	s_delay_alu instid0(VALU_DEP_2) | instskip(NEXT) | instid1(VALU_DEP_2)
	v_add_co_u32 v64, vcc_lo, v26, s3
	v_add_co_ci_u32_e32 v65, vcc_lo, s2, v27, vcc_lo
	global_store_b128 v[26:27], v[32:35], off
	v_add_co_u32 v26, vcc_lo, v64, s3
	v_add_co_ci_u32_e32 v27, vcc_lo, s2, v65, vcc_lo
	s_waitcnt vmcnt(0) lgkmcnt(5)
	v_mul_f64 v[66:67], v[82:83], v[2:3]
	v_mul_f64 v[68:69], v[82:83], v[0:1]
	scratch_load_b128 v[82:85], off, off offset:428 ; 16-byte Folded Reload
	v_fma_f64 v[32:33], v[80:81], v[0:1], v[66:67]
	v_fma_f64 v[34:35], v[80:81], v[2:3], -v[68:69]
	v_mul_f64 v[0:1], v[100:101], s[0:1]
	v_mul_f64 v[2:3], v[102:103], s[0:1]
	s_waitcnt vmcnt(0) lgkmcnt(4)
	v_mul_f64 v[70:71], v[84:85], v[6:7]
	v_mul_f64 v[8:9], v[84:85], v[4:5]
	scratch_load_b128 v[84:87], off, off offset:460 ; 16-byte Folded Reload
	s_waitcnt vmcnt(0) lgkmcnt(2)
	v_mul_f64 v[10:11], v[86:87], v[14:15]
	v_mul_f64 v[72:73], v[86:87], v[12:13]
	scratch_load_b128 v[86:89], off, off offset:476 ; 16-byte Folded Reload
	s_waitcnt vmcnt(0)
	v_mul_f64 v[74:75], v[88:89], v[30:31]
	v_mul_f64 v[56:57], v[88:89], v[28:29]
	scratch_load_b128 v[88:91], off, off offset:492 ; 16-byte Folded Reload
	v_fma_f64 v[56:57], v[86:87], v[30:31], -v[56:57]
	s_waitcnt vmcnt(0) lgkmcnt(1)
	v_mul_f64 v[58:59], v[90:91], v[18:19]
	v_mul_f64 v[76:77], v[90:91], v[16:17]
	scratch_load_b128 v[90:93], off, off offset:508 ; 16-byte Folded Reload
	global_store_b128 v[64:65], v[40:43], off
	global_store_b128 v[26:27], v[44:47], off
	v_fma_f64 v[40:41], v[82:83], v[4:5], v[70:71]
	v_fma_f64 v[42:43], v[82:83], v[6:7], -v[8:9]
	v_fma_f64 v[44:45], v[84:85], v[12:13], v[10:11]
	v_fma_f64 v[46:47], v[84:85], v[14:15], -v[72:73]
	v_fma_f64 v[64:65], v[86:87], v[28:29], v[74:75]
	v_mul_f64 v[4:5], v[60:61], s[0:1]
	v_mul_f64 v[6:7], v[62:63], s[0:1]
	v_add_co_u32 v72, vcc_lo, v26, s3
	v_add_co_ci_u32_e32 v73, vcc_lo, s2, v27, vcc_lo
	v_mul_f64 v[8:9], v[48:49], s[0:1]
	s_delay_alu instid0(VALU_DEP_3) | instskip(NEXT) | instid1(VALU_DEP_3)
	v_add_co_u32 v60, vcc_lo, v72, s3
	v_add_co_ci_u32_e32 v61, vcc_lo, s2, v73, vcc_lo
	v_mul_f64 v[10:11], v[50:51], s[0:1]
	s_delay_alu instid0(VALU_DEP_3) | instskip(NEXT) | instid1(VALU_DEP_3)
	v_add_co_u32 v48, vcc_lo, v60, s3
	v_add_co_ci_u32_e32 v49, vcc_lo, s2, v61, vcc_lo
	v_mul_f64 v[12:13], v[52:53], s[0:1]
	v_mul_f64 v[14:15], v[54:55], s[0:1]
	s_delay_alu instid0(VALU_DEP_4) | instskip(NEXT) | instid1(VALU_DEP_4)
	v_add_co_u32 v50, vcc_lo, v48, s3
	v_add_co_ci_u32_e32 v51, vcc_lo, s2, v49, vcc_lo
	global_store_b128 v[72:73], v[0:3], off
	v_fma_f64 v[58:59], v[88:89], v[16:17], v[58:59]
	v_fma_f64 v[66:67], v[88:89], v[18:19], -v[76:77]
	v_mul_f64 v[16:17], v[20:21], s[0:1]
	v_mul_f64 v[18:19], v[22:23], s[0:1]
	;; [unrolled: 1-line block ×9, first 2 shown]
	v_add_co_u32 v44, vcc_lo, v50, s4
	v_add_co_ci_u32_e32 v45, vcc_lo, s6, v51, vcc_lo
	global_store_b128 v[60:61], v[4:7], off
	v_add_co_u32 v0, vcc_lo, v44, s3
	v_add_co_ci_u32_e32 v1, vcc_lo, s2, v45, vcc_lo
	global_store_b128 v[48:49], v[8:11], off
	v_add_co_u32 v2, vcc_lo, v0, s3
	v_add_co_ci_u32_e32 v3, vcc_lo, s2, v1, vcc_lo
	s_delay_alu instid0(VALU_DEP_2) | instskip(NEXT) | instid1(VALU_DEP_2)
	v_add_co_u32 v4, vcc_lo, v2, s3
	v_add_co_ci_u32_e32 v5, vcc_lo, s2, v3, vcc_lo
	global_store_b128 v[50:51], v[12:15], off
	v_add_co_u32 v6, vcc_lo, v4, s3
	v_add_co_ci_u32_e32 v7, vcc_lo, s2, v5, vcc_lo
	s_delay_alu instid0(VALU_DEP_2) | instskip(NEXT) | instid1(VALU_DEP_2)
	v_add_co_u32 v8, vcc_lo, v6, s3
	v_add_co_ci_u32_e32 v9, vcc_lo, s2, v7, vcc_lo
	global_store_b128 v[44:45], v[16:19], off
	global_store_b128 v[0:1], v[20:23], off
	v_add_co_u32 v0, vcc_lo, v8, s3
	v_add_co_ci_u32_e32 v1, vcc_lo, s2, v9, vcc_lo
	s_waitcnt vmcnt(0) lgkmcnt(0)
	v_mul_f64 v[78:79], v[92:93], v[38:39]
	v_mul_f64 v[24:25], v[92:93], v[36:37]
	s_delay_alu instid0(VALU_DEP_2) | instskip(NEXT) | instid1(VALU_DEP_2)
	v_fma_f64 v[68:69], v[90:91], v[36:37], v[78:79]
	v_fma_f64 v[70:71], v[90:91], v[38:39], -v[24:25]
	v_mul_f64 v[24:25], v[40:41], s[0:1]
	v_mul_f64 v[36:37], v[58:59], s[0:1]
	;; [unrolled: 1-line block ×5, first 2 shown]
	global_store_b128 v[2:3], v[24:27], off
	global_store_b128 v[4:5], v[28:31], off
	;; [unrolled: 1-line block ×5, first 2 shown]
.LBB0_10:
	s_nop 0
	s_sendmsg sendmsg(MSG_DEALLOC_VGPRS)
	s_endpgm
	.section	.rodata,"a",@progbits
	.p2align	6, 0x0
	.amdhsa_kernel bluestein_single_fwd_len1925_dim1_dp_op_CI_CI
		.amdhsa_group_segment_fixed_size 30800
		.amdhsa_private_segment_fixed_size 2288
		.amdhsa_kernarg_size 104
		.amdhsa_user_sgpr_count 15
		.amdhsa_user_sgpr_dispatch_ptr 0
		.amdhsa_user_sgpr_queue_ptr 0
		.amdhsa_user_sgpr_kernarg_segment_ptr 1
		.amdhsa_user_sgpr_dispatch_id 0
		.amdhsa_user_sgpr_private_segment_size 0
		.amdhsa_wavefront_size32 1
		.amdhsa_uses_dynamic_stack 0
		.amdhsa_enable_private_segment 1
		.amdhsa_system_sgpr_workgroup_id_x 1
		.amdhsa_system_sgpr_workgroup_id_y 0
		.amdhsa_system_sgpr_workgroup_id_z 0
		.amdhsa_system_sgpr_workgroup_info 0
		.amdhsa_system_vgpr_workitem_id 0
		.amdhsa_next_free_vgpr 256
		.amdhsa_next_free_sgpr 40
		.amdhsa_reserve_vcc 1
		.amdhsa_float_round_mode_32 0
		.amdhsa_float_round_mode_16_64 0
		.amdhsa_float_denorm_mode_32 3
		.amdhsa_float_denorm_mode_16_64 3
		.amdhsa_dx10_clamp 1
		.amdhsa_ieee_mode 1
		.amdhsa_fp16_overflow 0
		.amdhsa_workgroup_processor_mode 1
		.amdhsa_memory_ordered 1
		.amdhsa_forward_progress 0
		.amdhsa_shared_vgpr_count 0
		.amdhsa_exception_fp_ieee_invalid_op 0
		.amdhsa_exception_fp_denorm_src 0
		.amdhsa_exception_fp_ieee_div_zero 0
		.amdhsa_exception_fp_ieee_overflow 0
		.amdhsa_exception_fp_ieee_underflow 0
		.amdhsa_exception_fp_ieee_inexact 0
		.amdhsa_exception_int_div_zero 0
	.end_amdhsa_kernel
	.text
.Lfunc_end0:
	.size	bluestein_single_fwd_len1925_dim1_dp_op_CI_CI, .Lfunc_end0-bluestein_single_fwd_len1925_dim1_dp_op_CI_CI
                                        ; -- End function
	.section	.AMDGPU.csdata,"",@progbits
; Kernel info:
; codeLenInByte = 69136
; NumSgprs: 42
; NumVgprs: 256
; ScratchSize: 2288
; MemoryBound: 0
; FloatMode: 240
; IeeeMode: 1
; LDSByteSize: 30800 bytes/workgroup (compile time only)
; SGPRBlocks: 5
; VGPRBlocks: 31
; NumSGPRsForWavesPerEU: 42
; NumVGPRsForWavesPerEU: 256
; Occupancy: 2
; WaveLimiterHint : 1
; COMPUTE_PGM_RSRC2:SCRATCH_EN: 1
; COMPUTE_PGM_RSRC2:USER_SGPR: 15
; COMPUTE_PGM_RSRC2:TRAP_HANDLER: 0
; COMPUTE_PGM_RSRC2:TGID_X_EN: 1
; COMPUTE_PGM_RSRC2:TGID_Y_EN: 0
; COMPUTE_PGM_RSRC2:TGID_Z_EN: 0
; COMPUTE_PGM_RSRC2:TIDIG_COMP_CNT: 0
	.text
	.p2alignl 7, 3214868480
	.fill 96, 4, 3214868480
	.type	__hip_cuid_65b90625322bd98f,@object ; @__hip_cuid_65b90625322bd98f
	.section	.bss,"aw",@nobits
	.globl	__hip_cuid_65b90625322bd98f
__hip_cuid_65b90625322bd98f:
	.byte	0                               ; 0x0
	.size	__hip_cuid_65b90625322bd98f, 1

	.ident	"AMD clang version 19.0.0git (https://github.com/RadeonOpenCompute/llvm-project roc-6.4.0 25133 c7fe45cf4b819c5991fe208aaa96edf142730f1d)"
	.section	".note.GNU-stack","",@progbits
	.addrsig
	.addrsig_sym __hip_cuid_65b90625322bd98f
	.amdgpu_metadata
---
amdhsa.kernels:
  - .args:
      - .actual_access:  read_only
        .address_space:  global
        .offset:         0
        .size:           8
        .value_kind:     global_buffer
      - .actual_access:  read_only
        .address_space:  global
        .offset:         8
        .size:           8
        .value_kind:     global_buffer
      - .actual_access:  read_only
        .address_space:  global
        .offset:         16
        .size:           8
        .value_kind:     global_buffer
      - .actual_access:  read_only
        .address_space:  global
        .offset:         24
        .size:           8
        .value_kind:     global_buffer
      - .actual_access:  read_only
        .address_space:  global
        .offset:         32
        .size:           8
        .value_kind:     global_buffer
      - .offset:         40
        .size:           8
        .value_kind:     by_value
      - .address_space:  global
        .offset:         48
        .size:           8
        .value_kind:     global_buffer
      - .address_space:  global
        .offset:         56
        .size:           8
        .value_kind:     global_buffer
      - .address_space:  global
        .offset:         64
        .size:           8
        .value_kind:     global_buffer
      - .address_space:  global
        .offset:         72
        .size:           8
        .value_kind:     global_buffer
      - .offset:         80
        .size:           4
        .value_kind:     by_value
      - .address_space:  global
        .offset:         88
        .size:           8
        .value_kind:     global_buffer
      - .address_space:  global
        .offset:         96
        .size:           8
        .value_kind:     global_buffer
    .group_segment_fixed_size: 30800
    .kernarg_segment_align: 8
    .kernarg_segment_size: 104
    .language:       OpenCL C
    .language_version:
      - 2
      - 0
    .max_flat_workgroup_size: 55
    .name:           bluestein_single_fwd_len1925_dim1_dp_op_CI_CI
    .private_segment_fixed_size: 2288
    .sgpr_count:     42
    .sgpr_spill_count: 0
    .symbol:         bluestein_single_fwd_len1925_dim1_dp_op_CI_CI.kd
    .uniform_work_group_size: 1
    .uses_dynamic_stack: false
    .vgpr_count:     256
    .vgpr_spill_count: 667
    .wavefront_size: 32
    .workgroup_processor_mode: 1
amdhsa.target:   amdgcn-amd-amdhsa--gfx1100
amdhsa.version:
  - 1
  - 2
...

	.end_amdgpu_metadata
